;; amdgpu-corpus repo=ROCm/rocFFT kind=compiled arch=gfx1030 opt=O3
	.text
	.amdgcn_target "amdgcn-amd-amdhsa--gfx1030"
	.amdhsa_code_object_version 6
	.protected	fft_rtc_back_len1683_factors_17_3_11_3_wgs_51_tpt_51_halfLds_dp_ip_CI_sbrr_dirReg ; -- Begin function fft_rtc_back_len1683_factors_17_3_11_3_wgs_51_tpt_51_halfLds_dp_ip_CI_sbrr_dirReg
	.globl	fft_rtc_back_len1683_factors_17_3_11_3_wgs_51_tpt_51_halfLds_dp_ip_CI_sbrr_dirReg
	.p2align	8
	.type	fft_rtc_back_len1683_factors_17_3_11_3_wgs_51_tpt_51_halfLds_dp_ip_CI_sbrr_dirReg,@function
fft_rtc_back_len1683_factors_17_3_11_3_wgs_51_tpt_51_halfLds_dp_ip_CI_sbrr_dirReg: ; @fft_rtc_back_len1683_factors_17_3_11_3_wgs_51_tpt_51_halfLds_dp_ip_CI_sbrr_dirReg
; %bb.0:
	s_clause 0x2
	s_load_dwordx2 s[14:15], s[4:5], 0x18
	s_load_dwordx4 s[8:11], s[4:5], 0x0
	s_load_dwordx2 s[12:13], s[4:5], 0x50
	v_mul_u32_u24_e32 v1, 0x506, v0
	v_mov_b32_e32 v3, 0
	v_add_nc_u32_sdwa v5, s6, v1 dst_sel:DWORD dst_unused:UNUSED_PAD src0_sel:DWORD src1_sel:WORD_1
	v_mov_b32_e32 v1, 0
	v_mov_b32_e32 v6, v3
	v_mov_b32_e32 v2, 0
	s_waitcnt lgkmcnt(0)
	s_load_dwordx2 s[2:3], s[14:15], 0x0
	v_cmp_lt_u64_e64 s0, s[10:11], 2
	s_and_b32 vcc_lo, exec_lo, s0
	s_cbranch_vccnz .LBB0_8
; %bb.1:
	s_load_dwordx2 s[0:1], s[4:5], 0x10
	v_mov_b32_e32 v1, 0
	s_add_u32 s6, s14, 8
	v_mov_b32_e32 v2, 0
	s_addc_u32 s7, s15, 0
	s_mov_b64 s[18:19], 1
	s_waitcnt lgkmcnt(0)
	s_add_u32 s16, s0, 8
	s_addc_u32 s17, s1, 0
.LBB0_2:                                ; =>This Inner Loop Header: Depth=1
	s_load_dwordx2 s[20:21], s[16:17], 0x0
                                        ; implicit-def: $vgpr7_vgpr8
	s_mov_b32 s0, exec_lo
	s_waitcnt lgkmcnt(0)
	v_or_b32_e32 v4, s21, v6
	v_cmpx_ne_u64_e32 0, v[3:4]
	s_xor_b32 s1, exec_lo, s0
	s_cbranch_execz .LBB0_4
; %bb.3:                                ;   in Loop: Header=BB0_2 Depth=1
	v_cvt_f32_u32_e32 v4, s20
	v_cvt_f32_u32_e32 v7, s21
	s_sub_u32 s0, 0, s20
	s_subb_u32 s22, 0, s21
	v_fmac_f32_e32 v4, 0x4f800000, v7
	v_rcp_f32_e32 v4, v4
	v_mul_f32_e32 v4, 0x5f7ffffc, v4
	v_mul_f32_e32 v7, 0x2f800000, v4
	v_trunc_f32_e32 v7, v7
	v_fmac_f32_e32 v4, 0xcf800000, v7
	v_cvt_u32_f32_e32 v7, v7
	v_cvt_u32_f32_e32 v4, v4
	v_mul_lo_u32 v8, s0, v7
	v_mul_hi_u32 v9, s0, v4
	v_mul_lo_u32 v10, s22, v4
	v_add_nc_u32_e32 v8, v9, v8
	v_mul_lo_u32 v9, s0, v4
	v_add_nc_u32_e32 v8, v8, v10
	v_mul_hi_u32 v10, v4, v9
	v_mul_lo_u32 v11, v4, v8
	v_mul_hi_u32 v12, v4, v8
	v_mul_hi_u32 v13, v7, v9
	v_mul_lo_u32 v9, v7, v9
	v_mul_hi_u32 v14, v7, v8
	v_mul_lo_u32 v8, v7, v8
	v_add_co_u32 v10, vcc_lo, v10, v11
	v_add_co_ci_u32_e32 v11, vcc_lo, 0, v12, vcc_lo
	v_add_co_u32 v9, vcc_lo, v10, v9
	v_add_co_ci_u32_e32 v9, vcc_lo, v11, v13, vcc_lo
	v_add_co_ci_u32_e32 v10, vcc_lo, 0, v14, vcc_lo
	v_add_co_u32 v8, vcc_lo, v9, v8
	v_add_co_ci_u32_e32 v9, vcc_lo, 0, v10, vcc_lo
	v_add_co_u32 v4, vcc_lo, v4, v8
	v_add_co_ci_u32_e32 v7, vcc_lo, v7, v9, vcc_lo
	v_mul_hi_u32 v8, s0, v4
	v_mul_lo_u32 v10, s22, v4
	v_mul_lo_u32 v9, s0, v7
	v_add_nc_u32_e32 v8, v8, v9
	v_mul_lo_u32 v9, s0, v4
	v_add_nc_u32_e32 v8, v8, v10
	v_mul_hi_u32 v10, v4, v9
	v_mul_lo_u32 v11, v4, v8
	v_mul_hi_u32 v12, v4, v8
	v_mul_hi_u32 v13, v7, v9
	v_mul_lo_u32 v9, v7, v9
	v_mul_hi_u32 v14, v7, v8
	v_mul_lo_u32 v8, v7, v8
	v_add_co_u32 v10, vcc_lo, v10, v11
	v_add_co_ci_u32_e32 v11, vcc_lo, 0, v12, vcc_lo
	v_add_co_u32 v9, vcc_lo, v10, v9
	v_add_co_ci_u32_e32 v9, vcc_lo, v11, v13, vcc_lo
	v_add_co_ci_u32_e32 v10, vcc_lo, 0, v14, vcc_lo
	v_add_co_u32 v8, vcc_lo, v9, v8
	v_add_co_ci_u32_e32 v9, vcc_lo, 0, v10, vcc_lo
	v_add_co_u32 v4, vcc_lo, v4, v8
	v_add_co_ci_u32_e32 v11, vcc_lo, v7, v9, vcc_lo
	v_mul_hi_u32 v13, v5, v4
	v_mad_u64_u32 v[9:10], null, v6, v4, 0
	v_mad_u64_u32 v[7:8], null, v5, v11, 0
	;; [unrolled: 1-line block ×3, first 2 shown]
	v_add_co_u32 v4, vcc_lo, v13, v7
	v_add_co_ci_u32_e32 v7, vcc_lo, 0, v8, vcc_lo
	v_add_co_u32 v4, vcc_lo, v4, v9
	v_add_co_ci_u32_e32 v4, vcc_lo, v7, v10, vcc_lo
	v_add_co_ci_u32_e32 v7, vcc_lo, 0, v12, vcc_lo
	v_add_co_u32 v4, vcc_lo, v4, v11
	v_add_co_ci_u32_e32 v9, vcc_lo, 0, v7, vcc_lo
	v_mul_lo_u32 v10, s21, v4
	v_mad_u64_u32 v[7:8], null, s20, v4, 0
	v_mul_lo_u32 v11, s20, v9
	v_sub_co_u32 v7, vcc_lo, v5, v7
	v_add3_u32 v8, v8, v11, v10
	v_sub_nc_u32_e32 v10, v6, v8
	v_subrev_co_ci_u32_e64 v10, s0, s21, v10, vcc_lo
	v_add_co_u32 v11, s0, v4, 2
	v_add_co_ci_u32_e64 v12, s0, 0, v9, s0
	v_sub_co_u32 v13, s0, v7, s20
	v_sub_co_ci_u32_e32 v8, vcc_lo, v6, v8, vcc_lo
	v_subrev_co_ci_u32_e64 v10, s0, 0, v10, s0
	v_cmp_le_u32_e32 vcc_lo, s20, v13
	v_cmp_eq_u32_e64 s0, s21, v8
	v_cndmask_b32_e64 v13, 0, -1, vcc_lo
	v_cmp_le_u32_e32 vcc_lo, s21, v10
	v_cndmask_b32_e64 v14, 0, -1, vcc_lo
	v_cmp_le_u32_e32 vcc_lo, s20, v7
	;; [unrolled: 2-line block ×3, first 2 shown]
	v_cndmask_b32_e64 v15, 0, -1, vcc_lo
	v_cmp_eq_u32_e32 vcc_lo, s21, v10
	v_cndmask_b32_e64 v7, v15, v7, s0
	v_cndmask_b32_e32 v10, v14, v13, vcc_lo
	v_add_co_u32 v13, vcc_lo, v4, 1
	v_add_co_ci_u32_e32 v14, vcc_lo, 0, v9, vcc_lo
	v_cmp_ne_u32_e32 vcc_lo, 0, v10
	v_cndmask_b32_e32 v8, v14, v12, vcc_lo
	v_cndmask_b32_e32 v10, v13, v11, vcc_lo
	v_cmp_ne_u32_e32 vcc_lo, 0, v7
	v_cndmask_b32_e32 v8, v9, v8, vcc_lo
	v_cndmask_b32_e32 v7, v4, v10, vcc_lo
.LBB0_4:                                ;   in Loop: Header=BB0_2 Depth=1
	s_andn2_saveexec_b32 s0, s1
	s_cbranch_execz .LBB0_6
; %bb.5:                                ;   in Loop: Header=BB0_2 Depth=1
	v_cvt_f32_u32_e32 v4, s20
	s_sub_i32 s1, 0, s20
	v_rcp_iflag_f32_e32 v4, v4
	v_mul_f32_e32 v4, 0x4f7ffffe, v4
	v_cvt_u32_f32_e32 v4, v4
	v_mul_lo_u32 v7, s1, v4
	v_mul_hi_u32 v7, v4, v7
	v_add_nc_u32_e32 v4, v4, v7
	v_mul_hi_u32 v4, v5, v4
	v_mul_lo_u32 v7, v4, s20
	v_add_nc_u32_e32 v8, 1, v4
	v_sub_nc_u32_e32 v7, v5, v7
	v_subrev_nc_u32_e32 v9, s20, v7
	v_cmp_le_u32_e32 vcc_lo, s20, v7
	v_cndmask_b32_e32 v7, v7, v9, vcc_lo
	v_cndmask_b32_e32 v4, v4, v8, vcc_lo
	v_cmp_le_u32_e32 vcc_lo, s20, v7
	v_add_nc_u32_e32 v8, 1, v4
	v_cndmask_b32_e32 v7, v4, v8, vcc_lo
	v_mov_b32_e32 v8, v3
.LBB0_6:                                ;   in Loop: Header=BB0_2 Depth=1
	s_or_b32 exec_lo, exec_lo, s0
	s_load_dwordx2 s[0:1], s[6:7], 0x0
	v_mul_lo_u32 v4, v8, s20
	v_mul_lo_u32 v11, v7, s21
	v_mad_u64_u32 v[9:10], null, v7, s20, 0
	s_add_u32 s18, s18, 1
	s_addc_u32 s19, s19, 0
	s_add_u32 s6, s6, 8
	s_addc_u32 s7, s7, 0
	;; [unrolled: 2-line block ×3, first 2 shown]
	v_add3_u32 v4, v10, v11, v4
	v_sub_co_u32 v5, vcc_lo, v5, v9
	v_sub_co_ci_u32_e32 v4, vcc_lo, v6, v4, vcc_lo
	s_waitcnt lgkmcnt(0)
	v_mul_lo_u32 v6, s1, v5
	v_mul_lo_u32 v4, s0, v4
	v_mad_u64_u32 v[1:2], null, s0, v5, v[1:2]
	v_cmp_ge_u64_e64 s0, s[18:19], s[10:11]
	s_and_b32 vcc_lo, exec_lo, s0
	v_add3_u32 v2, v6, v2, v4
	s_cbranch_vccnz .LBB0_9
; %bb.7:                                ;   in Loop: Header=BB0_2 Depth=1
	v_mov_b32_e32 v5, v7
	v_mov_b32_e32 v6, v8
	s_branch .LBB0_2
.LBB0_8:
	v_mov_b32_e32 v8, v6
	v_mov_b32_e32 v7, v5
.LBB0_9:
	s_lshl_b64 s[0:1], s[10:11], 3
	v_mul_hi_u32 v5, 0x5050506, v0
	s_add_u32 s0, s14, s0
	s_addc_u32 s1, s15, s1
                                        ; implicit-def: $vgpr18_vgpr19
                                        ; implicit-def: $vgpr22_vgpr23
                                        ; implicit-def: $vgpr58_vgpr59
                                        ; implicit-def: $vgpr62_vgpr63
                                        ; implicit-def: $vgpr66_vgpr67
                                        ; implicit-def: $vgpr50_vgpr51
                                        ; implicit-def: $vgpr54_vgpr55
                                        ; implicit-def: $vgpr14_vgpr15
                                        ; implicit-def: $vgpr10_vgpr11
                                        ; implicit-def: $vgpr46_vgpr47
                                        ; implicit-def: $vgpr42_vgpr43
                                        ; implicit-def: $vgpr38_vgpr39
                                        ; implicit-def: $vgpr34_vgpr35
                                        ; implicit-def: $vgpr30_vgpr31
                                        ; implicit-def: $vgpr26_vgpr27
                                        ; implicit-def: $vgpr134_vgpr135
                                        ; implicit-def: $vgpr130_vgpr131
                                        ; implicit-def: $vgpr126_vgpr127
                                        ; implicit-def: $vgpr122_vgpr123
                                        ; implicit-def: $vgpr118_vgpr119
                                        ; implicit-def: $vgpr110_vgpr111
                                        ; implicit-def: $vgpr98_vgpr99
                                        ; implicit-def: $vgpr70_vgpr71
                                        ; implicit-def: $vgpr74_vgpr75
                                        ; implicit-def: $vgpr78_vgpr79
                                        ; implicit-def: $vgpr86_vgpr87
                                        ; implicit-def: $vgpr82_vgpr83
                                        ; implicit-def: $vgpr90_vgpr91
                                        ; implicit-def: $vgpr102_vgpr103
                                        ; implicit-def: $vgpr114_vgpr115
                                        ; implicit-def: $vgpr106_vgpr107
                                        ; implicit-def: $vgpr94_vgpr95
	s_load_dwordx2 s[0:1], s[0:1], 0x0
	s_load_dwordx2 s[4:5], s[4:5], 0x20
	s_waitcnt lgkmcnt(0)
	v_mul_lo_u32 v3, s0, v8
	v_mul_lo_u32 v4, s1, v7
	v_mad_u64_u32 v[1:2], null, s0, v7, v[1:2]
	v_cmp_gt_u64_e32 vcc_lo, s[4:5], v[7:8]
                                        ; implicit-def: $vgpr6_vgpr7
	v_add3_u32 v2, v4, v2, v3
	v_mul_u32_u24_e32 v3, 51, v5
	v_lshlrev_b64 v[136:137], 4, v[1:2]
	v_sub_nc_u32_e32 v196, v0, v3
                                        ; implicit-def: $vgpr2_vgpr3
	s_and_saveexec_b32 s1, vcc_lo
	s_cbranch_execz .LBB0_13
; %bb.10:
	v_add_nc_u32_e32 v9, 0x63, v196
	v_mad_u64_u32 v[0:1], null, s2, v196, 0
	v_add_nc_u32_e32 v11, 0xc6, v196
	v_add_nc_u32_e32 v12, 0x129, v196
	v_mad_u64_u32 v[2:3], null, s2, v9, 0
	v_add_co_u32 v18, s0, s12, v136
	v_mad_u64_u32 v[7:8], null, s2, v12, 0
	v_add_co_ci_u32_e64 v19, s0, s13, v137, s0
	v_mad_u64_u32 v[4:5], null, s3, v196, v[1:2]
	v_mov_b32_e32 v1, v3
	v_mad_u64_u32 v[5:6], null, s2, v11, 0
	v_add_nc_u32_e32 v13, 0x18c, v196
	v_add_nc_u32_e32 v14, 0x252, v196
	v_mad_u64_u32 v[9:10], null, s3, v9, v[1:2]
	v_mov_b32_e32 v1, v4
	v_add_nc_u32_e32 v16, 0x318, v196
	v_mov_b32_e32 v4, v6
	v_add_nc_u32_e32 v17, 0x5cd, v196
	v_add_nc_u32_e32 v20, 0x630, v196
	v_lshlrev_b64 v[0:1], 4, v[0:1]
	v_mov_b32_e32 v3, v9
	v_mad_u64_u32 v[9:10], null, s3, v11, v[4:5]
	v_mad_u64_u32 v[10:11], null, s2, v13, 0
	v_lshlrev_b64 v[2:3], 4, v[2:3]
	v_add_co_u32 v0, s0, v18, v0
	v_add_co_ci_u32_e64 v1, s0, v19, v1, s0
	v_mov_b32_e32 v6, v9
	v_add_co_u32 v2, s0, v18, v2
	v_mad_u64_u32 v[8:9], null, s3, v12, v[8:9]
	v_add_nc_u32_e32 v9, 0x1ef, v196
	v_add_co_ci_u32_e64 v3, s0, v19, v3, s0
	s_clause 0x1
	global_load_dwordx4 v[92:95], v[0:1], off
	global_load_dwordx4 v[104:107], v[2:3], off
	v_mad_u64_u32 v[3:4], null, s2, v9, 0
	v_mov_b32_e32 v2, v11
	v_lshlrev_b64 v[0:1], 4, v[5:6]
	s_mov_b32 s4, exec_lo
                                        ; implicit-def: $vgpr24_vgpr25
                                        ; implicit-def: $vgpr28_vgpr29
                                        ; implicit-def: $vgpr32_vgpr33
                                        ; implicit-def: $vgpr36_vgpr37
                                        ; implicit-def: $vgpr40_vgpr41
                                        ; implicit-def: $vgpr44_vgpr45
                                        ; implicit-def: $vgpr52_vgpr53
                                        ; implicit-def: $vgpr48_vgpr49
                                        ; implicit-def: $vgpr64_vgpr65
                                        ; implicit-def: $vgpr60_vgpr61
                                        ; implicit-def: $vgpr56_vgpr57
	v_mad_u64_u32 v[5:6], null, s3, v13, v[2:3]
	v_mov_b32_e32 v2, v4
	v_lshlrev_b64 v[6:7], 4, v[7:8]
	v_add_co_u32 v0, s0, v18, v0
	v_add_co_ci_u32_e64 v1, s0, v19, v1, s0
	v_mov_b32_e32 v11, v5
	v_mad_u64_u32 v[4:5], null, s3, v9, v[2:3]
	v_mad_u64_u32 v[8:9], null, s2, v14, 0
	v_add_co_u32 v5, s0, v18, v6
	v_add_co_ci_u32_e64 v6, s0, v19, v7, s0
	v_add_nc_u32_e32 v7, 0x2b5, v196
	v_lshlrev_b64 v[10:11], 4, v[10:11]
	v_lshlrev_b64 v[3:4], 4, v[3:4]
	v_mov_b32_e32 v2, v9
	v_mad_u64_u32 v[12:13], null, s2, v7, 0
	v_add_co_u32 v10, s0, v18, v10
	v_mad_u64_u32 v[14:15], null, s3, v14, v[2:3]
	v_add_co_ci_u32_e64 v11, s0, v19, v11, s0
	v_mov_b32_e32 v2, v13
	v_add_co_u32 v3, s0, v18, v3
	v_add_co_ci_u32_e64 v4, s0, v19, v4, s0
	v_mov_b32_e32 v9, v14
	v_mad_u64_u32 v[13:14], null, s3, v7, v[2:3]
	v_mad_u64_u32 v[14:15], null, s2, v16, 0
	s_clause 0x3
	global_load_dwordx4 v[112:115], v[0:1], off
	global_load_dwordx4 v[100:103], v[5:6], off
	;; [unrolled: 1-line block ×4, first 2 shown]
	v_add_nc_u32_e32 v10, 0x37b, v196
	v_lshlrev_b64 v[0:1], 4, v[8:9]
	v_lshlrev_b64 v[5:6], 4, v[12:13]
	v_add_nc_u32_e32 v12, 0x3de, v196
	v_mad_u64_u32 v[3:4], null, s2, v10, 0
	v_mov_b32_e32 v2, v15
	v_add_co_u32 v0, s0, v18, v0
	v_add_co_ci_u32_e64 v1, s0, v19, v1, s0
	v_mad_u64_u32 v[7:8], null, s3, v16, v[2:3]
	v_mov_b32_e32 v2, v4
	v_add_co_u32 v4, s0, v18, v5
	v_mad_u64_u32 v[8:9], null, s2, v12, 0
	v_add_co_ci_u32_e64 v5, s0, v19, v6, s0
	v_mov_b32_e32 v15, v7
	v_mad_u64_u32 v[6:7], null, s3, v10, v[2:3]
	v_add_nc_u32_e32 v16, 0x441, v196
	v_mov_b32_e32 v2, v9
	s_clause 0x1
	global_load_dwordx4 v[84:87], v[0:1], off
	global_load_dwordx4 v[76:79], v[4:5], off
	v_lshlrev_b64 v[0:1], 4, v[14:15]
	v_add_nc_u32_e32 v14, 0x507, v196
	v_mad_u64_u32 v[10:11], null, s2, v16, 0
	v_mov_b32_e32 v4, v6
	v_mad_u64_u32 v[12:13], null, s3, v12, v[2:3]
	v_add_co_u32 v0, s0, v18, v0
	v_lshlrev_b64 v[3:4], 4, v[3:4]
	v_mov_b32_e32 v2, v11
	v_add_co_ci_u32_e64 v1, s0, v19, v1, s0
	v_mov_b32_e32 v9, v12
	v_add_nc_u32_e32 v12, 0x4a4, v196
	v_mad_u64_u32 v[5:6], null, s3, v16, v[2:3]
	v_add_co_u32 v2, s0, v18, v3
	v_lshlrev_b64 v[6:7], 4, v[8:9]
	v_mad_u64_u32 v[8:9], null, s2, v12, 0
	v_add_co_ci_u32_e64 v3, s0, v19, v4, s0
	v_mov_b32_e32 v11, v5
	s_clause 0x1
	global_load_dwordx4 v[72:75], v[0:1], off
	global_load_dwordx4 v[68:71], v[2:3], off
	v_add_nc_u32_e32 v16, 0x56a, v196
	v_mov_b32_e32 v2, v9
	v_lshlrev_b64 v[3:4], 4, v[10:11]
	v_add_co_u32 v0, s0, v18, v6
	v_add_co_ci_u32_e64 v1, s0, v19, v7, s0
	v_mad_u64_u32 v[10:11], null, s2, v16, 0
	v_mad_u64_u32 v[5:6], null, s3, v12, v[2:3]
	;; [unrolled: 1-line block ×3, first 2 shown]
	v_add_co_u32 v2, s0, v18, v3
	v_add_co_ci_u32_e64 v3, s0, v19, v4, s0
	v_mov_b32_e32 v9, v5
	v_mov_b32_e32 v5, v11
	;; [unrolled: 1-line block ×3, first 2 shown]
	v_mad_u64_u32 v[12:13], null, s2, v17, 0
	s_clause 0x1
	global_load_dwordx4 v[96:99], v[0:1], off
	global_load_dwordx4 v[108:111], v[2:3], off
	v_lshlrev_b64 v[1:2], 4, v[8:9]
	v_mad_u64_u32 v[14:15], null, s3, v14, v[4:5]
	v_mad_u64_u32 v[4:5], null, s3, v16, v[5:6]
	;; [unrolled: 1-line block ×3, first 2 shown]
	v_mov_b32_e32 v0, v13
	v_mov_b32_e32 v7, v14
	;; [unrolled: 1-line block ×3, first 2 shown]
	v_mad_u64_u32 v[3:4], null, s3, v17, v[0:1]
	v_mov_b32_e32 v0, v16
	v_add_co_u32 v1, s0, v18, v1
	v_lshlrev_b64 v[4:5], 4, v[6:7]
	v_add_co_ci_u32_e64 v2, s0, v19, v2, s0
	v_mad_u64_u32 v[6:7], null, s3, v20, v[0:1]
	v_lshlrev_b64 v[7:8], 4, v[10:11]
	v_mov_b32_e32 v13, v3
	v_add_co_u32 v3, s0, v18, v4
	v_add_co_ci_u32_e64 v4, s0, v19, v5, s0
	v_mov_b32_e32 v16, v6
	v_lshlrev_b64 v[9:10], 4, v[12:13]
	v_add_co_u32 v5, s0, v18, v7
	v_add_co_ci_u32_e64 v6, s0, v19, v8, s0
	v_lshlrev_b64 v[7:8], 4, v[15:16]
	v_add_co_u32 v9, s0, v18, v9
	v_add_co_ci_u32_e64 v10, s0, v19, v10, s0
                                        ; implicit-def: $vgpr12_vgpr13
                                        ; implicit-def: $vgpr20_vgpr21
                                        ; implicit-def: $vgpr16_vgpr17
	v_add_co_u32 v7, s0, v18, v7
	v_add_co_ci_u32_e64 v8, s0, v19, v8, s0
	s_clause 0x4
	global_load_dwordx4 v[116:119], v[1:2], off
	global_load_dwordx4 v[120:123], v[3:4], off
	;; [unrolled: 1-line block ×5, first 2 shown]
                                        ; implicit-def: $vgpr0_vgpr1
                                        ; implicit-def: $vgpr4_vgpr5
                                        ; implicit-def: $vgpr8_vgpr9
	v_cmpx_gt_u32_e32 48, v196
	s_cbranch_execz .LBB0_12
; %bb.11:
	v_add_nc_u32_e32 v6, 51, v196
	v_add_nc_u32_e32 v8, 0x96, v196
	;; [unrolled: 1-line block ×5, first 2 shown]
	v_mad_u64_u32 v[0:1], null, s2, v6, 0
	v_mad_u64_u32 v[2:3], null, s2, v8, 0
	;; [unrolled: 1-line block ×3, first 2 shown]
	v_add_nc_u32_e32 v15, 0x222, v196
	v_add_nc_u32_e32 v16, 0x285, v196
	;; [unrolled: 1-line block ×4, first 2 shown]
	v_mad_u64_u32 v[6:7], null, s3, v6, v[1:2]
	v_mad_u64_u32 v[7:8], null, s3, v8, v[3:4]
	;; [unrolled: 1-line block ×3, first 2 shown]
	v_add_nc_u32_e32 v40, 0x3ae, v196
	v_add_nc_u32_e32 v50, 0x411, v196
	v_mov_b32_e32 v1, v6
	v_mad_u64_u32 v[5:6], null, s3, v10, v[5:6]
	v_mov_b32_e32 v3, v7
	v_mad_u64_u32 v[6:7], null, s2, v14, 0
	v_lshlrev_b64 v[0:1], 4, v[0:1]
	v_add_nc_u32_e32 v51, 0x53a, v196
	v_lshlrev_b64 v[2:3], 4, v[2:3]
	v_lshlrev_b64 v[4:5], 4, v[4:5]
	v_add_nc_u32_e32 v52, 0x59d, v196
	v_or_b32_e32 v65, 0x600, v196
	v_add_co_u32 v0, s0, v18, v0
	v_add_co_ci_u32_e64 v1, s0, v19, v1, s0
	v_add_co_u32 v10, s0, v18, v2
	v_add_co_ci_u32_e64 v11, s0, v19, v3, s0
	s_clause 0x1
	global_load_dwordx4 v[0:3], v[0:1], off
	global_load_dwordx4 v[24:27], v[10:11], off
	v_mad_u64_u32 v[12:13], null, s3, v12, v[9:10]
	v_mad_u64_u32 v[10:11], null, s2, v15, 0
	v_add_co_u32 v4, s0, v18, v4
	v_add_co_ci_u32_e64 v5, s0, v19, v5, s0
	v_mov_b32_e32 v9, v12
	v_mad_u64_u32 v[12:13], null, s3, v14, v[7:8]
	v_mad_u64_u32 v[56:57], null, s2, v51, 0
	v_lshlrev_b64 v[8:9], 4, v[8:9]
	v_mad_u64_u32 v[58:59], null, s2, v52, 0
	v_mad_u64_u32 v[60:61], null, s2, v65, 0
	v_mov_b32_e32 v7, v12
	v_mad_u64_u32 v[11:12], null, s3, v15, v[11:12]
	v_mad_u64_u32 v[12:13], null, s2, v16, 0
	;; [unrolled: 1-line block ×3, first 2 shown]
	v_lshlrev_b64 v[6:7], 4, v[6:7]
	v_add_co_u32 v8, s0, v18, v8
	v_add_co_ci_u32_e64 v9, s0, v19, v9, s0
	v_lshlrev_b64 v[10:11], 4, v[10:11]
	v_mad_u64_u32 v[16:17], null, s3, v16, v[13:14]
	v_add_co_u32 v20, s0, v18, v6
	v_mov_b32_e32 v6, v15
	v_add_co_ci_u32_e64 v21, s0, v19, v7, s0
	v_add_co_u32 v10, s0, v18, v10
	v_mov_b32_e32 v13, v16
	v_mad_u64_u32 v[15:16], null, s3, v22, v[6:7]
	v_mad_u64_u32 v[16:17], null, s2, v23, 0
	v_add_co_ci_u32_e64 v11, s0, v19, v11, s0
	s_clause 0x3
	global_load_dwordx4 v[4:7], v[4:5], off
	global_load_dwordx4 v[28:31], v[8:9], off
	;; [unrolled: 1-line block ×4, first 2 shown]
	v_lshlrev_b64 v[8:9], 4, v[12:13]
	v_mad_u64_u32 v[11:12], null, s2, v40, 0
	v_mov_b32_e32 v10, v17
	v_lshlrev_b64 v[13:14], 4, v[14:15]
	v_add_nc_u32_e32 v66, 0x663, v196
	v_add_co_u32 v8, s0, v18, v8
	v_add_co_ci_u32_e64 v9, s0, v19, v9, s0
	v_mad_u64_u32 v[20:21], null, s3, v23, v[10:11]
	v_mad_u64_u32 v[21:22], null, s2, v50, 0
	v_mov_b32_e32 v10, v12
	v_add_co_u32 v12, s0, v18, v13
	v_add_co_ci_u32_e64 v13, s0, v19, v14, s0
	v_mad_u64_u32 v[14:15], null, s3, v40, v[10:11]
	v_add_nc_u32_e32 v23, 0x474, v196
	v_mov_b32_e32 v17, v20
	v_mov_b32_e32 v10, v22
	s_clause 0x1
	global_load_dwordx4 v[40:43], v[8:9], off
	global_load_dwordx4 v[44:47], v[12:13], off
	v_mad_u64_u32 v[48:49], null, s2, v23, 0
	v_lshlrev_b64 v[8:9], 4, v[16:17]
	v_mad_u64_u32 v[15:16], null, s3, v50, v[10:11]
	v_mov_b32_e32 v12, v14
	v_add_nc_u32_e32 v50, 0x4d7, v196
	v_mov_b32_e32 v10, v49
	v_add_co_u32 v8, s0, v18, v8
	v_lshlrev_b64 v[11:12], 4, v[11:12]
	v_mov_b32_e32 v22, v15
	v_add_co_ci_u32_e64 v9, s0, v19, v9, s0
	v_mad_u64_u32 v[16:17], null, s3, v23, v[10:11]
	v_lshlrev_b64 v[20:21], 4, v[21:22]
	v_mad_u64_u32 v[22:23], null, s2, v50, 0
	v_add_co_u32 v13, s0, v18, v11
	v_add_co_ci_u32_e64 v14, s0, v19, v12, s0
	v_mov_b32_e32 v49, v16
	v_add_co_u32 v16, s0, v18, v20
	v_mov_b32_e32 v20, v23
	v_add_co_ci_u32_e64 v17, s0, v19, v21, s0
	v_lshlrev_b64 v[48:49], 4, v[48:49]
	s_clause 0x1
	global_load_dwordx4 v[8:11], v[8:9], off
	global_load_dwordx4 v[12:15], v[13:14], off
	v_mad_u64_u32 v[20:21], null, s3, v50, v[20:21]
	v_mov_b32_e32 v21, v59
	v_add_co_u32 v48, s0, v18, v48
	v_add_co_ci_u32_e64 v49, s0, v19, v49, s0
	v_mov_b32_e32 v23, v20
	v_mov_b32_e32 v20, v57
	v_mad_u64_u32 v[62:63], null, s3, v51, v[20:21]
	v_mad_u64_u32 v[63:64], null, s2, v66, 0
	;; [unrolled: 1-line block ×3, first 2 shown]
	s_clause 0x1
	global_load_dwordx4 v[52:55], v[16:17], off
	global_load_dwordx4 v[48:51], v[48:49], off
	v_mov_b32_e32 v16, v61
	v_lshlrev_b64 v[21:22], 4, v[22:23]
	v_mov_b32_e32 v57, v62
	v_mad_u64_u32 v[16:17], null, s3, v65, v[16:17]
	v_mov_b32_e32 v17, v64
	v_mov_b32_e32 v59, v20
	v_add_co_u32 v20, s0, v18, v21
	v_add_co_ci_u32_e64 v21, s0, v19, v22, s0
	v_lshlrev_b64 v[22:23], 4, v[56:57]
	v_mad_u64_u32 v[56:57], null, s3, v66, v[17:18]
	v_lshlrev_b64 v[57:58], 4, v[58:59]
	v_mov_b32_e32 v61, v16
	v_add_co_u32 v16, s0, v18, v22
	v_add_co_ci_u32_e64 v17, s0, v19, v23, s0
	v_mov_b32_e32 v64, v56
	v_lshlrev_b64 v[22:23], 4, v[60:61]
	v_add_co_u32 v56, s0, v18, v57
	v_add_co_ci_u32_e64 v57, s0, v19, v58, s0
	v_lshlrev_b64 v[58:59], 4, v[63:64]
	v_add_co_u32 v22, s0, v18, v22
	v_add_co_ci_u32_e64 v23, s0, v19, v23, s0
	v_add_co_u32 v18, s0, v18, v58
	v_add_co_ci_u32_e64 v19, s0, v19, v59, s0
	s_clause 0x4
	global_load_dwordx4 v[64:67], v[20:21], off
	global_load_dwordx4 v[60:63], v[16:17], off
	;; [unrolled: 1-line block ×5, first 2 shown]
.LBB0_12:
	s_or_b32 exec_lo, exec_lo, s4
.LBB0_13:
	s_or_b32 exec_lo, exec_lo, s1
	s_waitcnt vmcnt(15)
	v_add_f64 v[138:139], v[104:105], v[92:93]
	s_waitcnt vmcnt(0)
	v_add_f64 v[142:143], v[106:107], -v[134:135]
	s_mov_b32 s46, 0xeb564b22
	s_mov_b32 s47, 0xbfefdd0d
	v_add_f64 v[140:141], v[132:133], v[104:105]
	v_add_f64 v[144:145], v[114:115], -v[130:131]
	s_mov_b32 s42, 0x5d8e7cdc
	s_mov_b32 s14, 0x3259b75e
	s_mov_b32 s36, 0xacd6c6b4
	s_mov_b32 s43, 0xbfd71e95
	s_mov_b32 s15, 0x3fb79ee6
	s_mov_b32 s37, 0xbfc7851a
	v_add_f64 v[146:147], v[128:129], v[112:113]
	s_mov_b32 s10, 0x370991
	s_mov_b32 s44, 0x2a9d6da3
	;; [unrolled: 1-line block ×9, first 2 shown]
	v_add_f64 v[138:139], v[112:113], v[138:139]
	v_mul_f64 v[162:163], v[142:143], s[46:47]
	v_mul_f64 v[156:157], v[142:143], s[42:43]
	s_mov_b32 s49, 0xbfeca52d
	s_mov_b32 s17, 0xbfeec746
	v_mul_f64 v[176:177], v[144:145], s[36:37]
	s_mov_b32 s21, 0xbfe9895b
	s_mov_b32 s25, 0xbfe0d888
	;; [unrolled: 1-line block ×11, first 2 shown]
	v_mul_f64 v[158:159], v[142:143], s[44:45]
	v_mul_f64 v[160:161], v[142:143], s[48:49]
	v_mul_f64 v[164:165], v[142:143], s[16:17]
	v_mul_f64 v[166:167], v[142:143], s[20:21]
	v_mul_f64 v[168:169], v[142:143], s[24:25]
	v_add_f64 v[138:139], v[100:101], v[138:139]
	v_fma_f64 v[217:218], v[140:141], s[14:15], v[162:163]
	v_fma_f64 v[162:163], v[140:141], s[14:15], -v[162:163]
	v_mul_f64 v[142:143], v[142:143], s[36:37]
	v_mul_f64 v[170:171], v[144:145], s[44:45]
	;; [unrolled: 1-line block ×8, first 2 shown]
	v_fma_f64 v[211:212], v[140:141], s[10:11], v[156:157]
	v_fma_f64 v[231:232], v[146:147], s[38:39], v[176:177]
	v_fma_f64 v[176:177], v[146:147], s[38:39], -v[176:177]
	s_mov_b32 s4, 0x75d4884
	s_mov_b32 s6, 0x2b2883cd
	s_mov_b32 s18, 0xc61f0d01
	s_mov_b32 s22, 0x6ed5f1bb
	s_mov_b32 s26, 0x910ea3b9
	s_mov_b32 s5, 0x3fe7a5f6
	s_mov_b32 s7, 0x3fdc86fa
	s_mov_b32 s19, 0xbfd183b1
	v_add_f64 v[138:139], v[88:89], v[138:139]
	s_mov_b32 s23, 0xbfe348c8
	v_add_f64 v[162:163], v[92:93], v[162:163]
	s_mov_b32 s27, 0xbfeb34fa
	v_add_f64 v[148:149], v[102:103], -v[126:127]
	v_add_f64 v[154:155], v[90:91], -v[122:123]
	v_fma_f64 v[156:157], v[140:141], s[10:11], -v[156:157]
	v_fma_f64 v[213:214], v[140:141], s[4:5], v[158:159]
	v_fma_f64 v[158:159], v[140:141], s[4:5], -v[158:159]
	v_fma_f64 v[215:216], v[140:141], s[6:7], v[160:161]
	;; [unrolled: 2-line block ×7, first 2 shown]
	v_fma_f64 v[239:240], v[146:147], s[10:11], v[144:145]
	v_fma_f64 v[241:242], v[146:147], s[10:11], -v[144:145]
	v_add_f64 v[138:139], v[80:81], v[138:139]
	v_add_f64 v[144:145], v[92:93], v[211:212]
	;; [unrolled: 1-line block ×3, first 2 shown]
	s_mov_b32 s57, 0x3fc7851a
	s_mov_b32 s35, 0x3fe58eea
	;; [unrolled: 1-line block ×6, first 2 shown]
	v_add_f64 v[150:151], v[124:125], v[100:101]
	v_add_f64 v[152:153], v[120:121], v[88:89]
	v_mul_f64 v[184:185], v[148:149], s[48:49]
	v_mul_f64 v[186:187], v[148:149], s[20:21]
	;; [unrolled: 1-line block ×11, first 2 shown]
	v_add_f64 v[138:139], v[84:85], v[138:139]
	v_mul_f64 v[205:206], v[154:155], s[30:31]
	v_mul_f64 v[207:208], v[154:155], s[48:49]
	;; [unrolled: 1-line block ×3, first 2 shown]
	v_fma_f64 v[142:143], v[146:147], s[4:5], -v[170:171]
	v_fma_f64 v[170:171], v[146:147], s[14:15], v[172:173]
	v_fma_f64 v[172:173], v[146:147], s[14:15], -v[172:173]
	v_fma_f64 v[229:230], v[146:147], s[22:23], v[174:175]
	v_fma_f64 v[174:175], v[146:147], s[22:23], -v[174:175]
	v_fma_f64 v[233:234], v[146:147], s[26:27], v[178:179]
	v_fma_f64 v[178:179], v[146:147], s[26:27], -v[178:179]
	v_fma_f64 v[235:236], v[146:147], s[18:19], v[180:181]
	v_fma_f64 v[180:181], v[146:147], s[18:19], -v[180:181]
	v_fma_f64 v[237:238], v[146:147], s[6:7], v[182:183]
	v_fma_f64 v[182:183], v[146:147], s[6:7], -v[182:183]
	v_add_f64 v[146:147], v[92:93], v[156:157]
	v_add_f64 v[156:157], v[92:93], v[213:214]
	;; [unrolled: 1-line block ×10, first 2 shown]
	v_mul_f64 v[144:145], v[154:155], s[54:55]
	v_mul_f64 v[154:155], v[154:155], s[34:35]
	v_fma_f64 v[217:218], v[150:151], s[6:7], v[184:185]
	v_fma_f64 v[184:185], v[150:151], s[6:7], -v[184:185]
	v_fma_f64 v[219:220], v[150:151], s[22:23], v[186:187]
	v_fma_f64 v[186:187], v[150:151], s[22:23], -v[186:187]
	;; [unrolled: 2-line block ×3, first 2 shown]
	v_fma_f64 v[245:246], v[150:151], s[18:19], v[190:191]
	v_add_f64 v[221:222], v[92:93], v[221:222]
	v_add_f64 v[166:167], v[92:93], v[166:167]
	v_add_f64 v[223:224], v[92:93], v[223:224]
	v_add_f64 v[168:169], v[92:93], v[168:169]
	v_add_f64 v[249:250], v[142:143], v[146:147]
	v_add_f64 v[156:157], v[170:171], v[156:157]
	v_add_f64 v[158:159], v[172:173], v[158:159]
	v_add_f64 v[170:171], v[229:230], v[211:212]
	v_add_f64 v[160:161], v[174:175], v[160:161]
	v_add_f64 v[172:173], v[231:232], v[213:214]
	v_add_f64 v[176:177], v[72:73], v[138:139]
	v_add_f64 v[174:175], v[233:234], v[215:216]
	v_add_f64 v[164:165], v[178:179], v[164:165]
	v_fma_f64 v[178:179], v[150:151], s[18:19], -v[190:191]
	v_fma_f64 v[190:191], v[150:151], s[4:5], v[192:193]
	v_fma_f64 v[192:193], v[150:151], s[4:5], -v[192:193]
	v_fma_f64 v[211:212], v[150:151], s[10:11], v[194:195]
	;; [unrolled: 2-line block ×9, first 2 shown]
	v_fma_f64 v[207:208], v[152:153], s[6:7], -v[207:208]
	v_add_f64 v[176:177], v[68:69], v[176:177]
	v_fma_f64 v[138:139], v[152:153], s[26:27], v[209:210]
	v_fma_f64 v[140:141], v[152:153], s[26:27], -v[209:210]
	v_fma_f64 v[142:143], v[152:153], s[22:23], v[144:145]
	v_fma_f64 v[144:145], v[152:153], s[22:23], -v[144:145]
	;; [unrolled: 2-line block ×3, first 2 shown]
	v_add_f64 v[152:153], v[82:83], -v[118:119]
	v_add_f64 v[154:155], v[92:93], v[225:226]
	v_add_f64 v[92:93], v[92:93], v[227:228]
	;; [unrolled: 1-line block ×5, first 2 shown]
	v_add_f64 v[180:181], v[86:87], -v[110:111]
	v_add_f64 v[223:224], v[237:238], v[223:224]
	v_add_f64 v[168:169], v[182:183], v[168:169]
	;; [unrolled: 1-line block ×9, first 2 shown]
	s_mov_b32 s41, 0x3fefdd0d
	s_mov_b32 s40, s46
	v_add_f64 v[225:226], v[108:109], v[84:85]
	v_add_f64 v[160:161], v[188:189], v[160:161]
	;; [unrolled: 1-line block ×4, first 2 shown]
	v_mul_f64 v[182:183], v[152:153], s[16:17]
	v_add_f64 v[154:155], v[239:240], v[154:155]
	v_mul_f64 v[227:228], v[152:153], s[52:53]
	v_add_f64 v[92:93], v[241:242], v[92:93]
	v_mul_f64 v[235:236], v[152:153], s[34:35]
	v_mul_f64 v[237:238], v[152:153], s[48:49]
	;; [unrolled: 1-line block ×7, first 2 shown]
	v_add_f64 v[164:165], v[192:193], v[164:165]
	v_add_f64 v[209:210], v[211:212], v[209:210]
	;; [unrolled: 1-line block ×11, first 2 shown]
	v_fma_f64 v[190:191], v[221:222], s[18:19], v[182:183]
	v_fma_f64 v[182:183], v[221:222], s[18:19], -v[182:183]
	v_fma_f64 v[192:193], v[221:222], s[26:27], v[227:228]
	v_fma_f64 v[227:228], v[221:222], s[26:27], -v[227:228]
	v_fma_f64 v[211:212], v[221:222], s[4:5], v[235:236]
	v_fma_f64 v[194:195], v[221:222], s[6:7], v[237:238]
	v_add_f64 v[154:155], v[215:216], v[154:155]
	v_add_f64 v[92:93], v[150:151], v[92:93]
	;; [unrolled: 1-line block ×3, first 2 shown]
	v_mul_f64 v[188:189], v[180:181], s[50:51]
	v_mul_f64 v[243:244], v[180:181], s[42:43]
	;; [unrolled: 1-line block ×3, first 2 shown]
	v_fma_f64 v[235:236], v[221:222], s[4:5], -v[235:236]
	v_fma_f64 v[237:238], v[221:222], s[6:7], -v[237:238]
	v_fma_f64 v[223:224], v[221:222], s[38:39], v[239:240]
	v_add_f64 v[176:177], v[116:117], v[176:177]
	v_add_f64 v[160:161], v[203:204], v[160:161]
	v_fma_f64 v[197:198], v[221:222], s[38:39], -v[239:240]
	v_fma_f64 v[199:200], v[221:222], s[14:15], v[219:220]
	v_add_f64 v[162:163], v[205:206], v[162:163]
	v_fma_f64 v[201:202], v[221:222], s[14:15], -v[219:220]
	v_add_f64 v[174:175], v[253:254], v[174:175]
	v_add_f64 v[164:165], v[207:208], v[164:165]
	v_fma_f64 v[203:204], v[221:222], s[10:11], v[186:187]
	v_fma_f64 v[186:187], v[221:222], s[10:11], -v[186:187]
	v_add_f64 v[138:139], v[138:139], v[209:210]
	v_add_f64 v[140:141], v[140:141], v[166:167]
	;; [unrolled: 1-line block ×13, first 2 shown]
	v_add_f64 v[170:171], v[78:79], -v[98:99]
	v_fma_f64 v[172:173], v[221:222], s[22:23], v[152:153]
	v_fma_f64 v[152:153], v[221:222], s[22:23], -v[152:153]
	v_fma_f64 v[176:177], v[225:226], s[22:23], v[241:242]
	v_mul_f64 v[182:183], v[180:181], s[40:41]
	v_add_f64 v[160:161], v[235:236], v[160:161]
	v_add_f64 v[162:163], v[237:238], v[162:163]
	;; [unrolled: 1-line block ×4, first 2 shown]
	v_fma_f64 v[184:185], v[225:226], s[22:23], -v[241:242]
	v_add_f64 v[138:139], v[199:200], v[138:139]
	v_fma_f64 v[190:191], v[225:226], s[18:19], v[188:189]
	v_fma_f64 v[188:189], v[225:226], s[18:19], -v[188:189]
	v_fma_f64 v[192:193], v[225:226], s[10:11], v[243:244]
	v_mul_f64 v[194:195], v[180:181], s[44:45]
	v_add_f64 v[140:141], v[201:202], v[140:141]
	v_fma_f64 v[197:198], v[225:226], s[10:11], -v[243:244]
	v_mul_f64 v[199:200], v[180:181], s[36:37]
	v_fma_f64 v[201:202], v[225:226], s[26:27], v[178:179]
	v_add_f64 v[142:143], v[203:204], v[142:143]
	v_mul_f64 v[180:181], v[180:181], s[28:29]
	v_add_f64 v[144:145], v[186:187], v[144:145]
	v_add_f64 v[186:187], v[96:97], v[76:77]
	v_mul_f64 v[203:204], v[170:171], s[24:25]
	v_add_f64 v[92:93], v[152:153], v[92:93]
	v_mul_f64 v[152:153], v[170:171], s[46:47]
	v_fma_f64 v[178:179], v[225:226], s[26:27], -v[178:179]
	v_add_f64 v[148:149], v[176:177], v[148:149]
	v_fma_f64 v[176:177], v[225:226], s[14:15], v[182:183]
	v_add_f64 v[146:147], v[172:173], v[146:147]
	v_mul_f64 v[172:173], v[170:171], s[28:29]
	v_add_f64 v[150:151], v[184:185], v[150:151]
	v_fma_f64 v[182:183], v[225:226], s[14:15], -v[182:183]
	v_add_f64 v[154:155], v[190:191], v[154:155]
	v_add_f64 v[156:157], v[188:189], v[156:157]
	;; [unrolled: 1-line block ×3, first 2 shown]
	v_fma_f64 v[184:185], v[225:226], s[4:5], v[194:195]
	v_fma_f64 v[188:189], v[225:226], s[4:5], -v[194:195]
	v_add_f64 v[160:161], v[197:198], v[160:161]
	v_fma_f64 v[190:191], v[225:226], s[38:39], v[199:200]
	v_add_f64 v[168:169], v[201:202], v[168:169]
	v_fma_f64 v[192:193], v[225:226], s[38:39], -v[199:200]
	v_fma_f64 v[194:195], v[225:226], s[6:7], v[180:181]
	v_mul_f64 v[197:198], v[170:171], s[54:55]
	v_fma_f64 v[180:181], v[225:226], s[6:7], -v[180:181]
	v_fma_f64 v[199:200], v[186:187], s[26:27], v[203:204]
	v_fma_f64 v[201:202], v[186:187], s[26:27], -v[203:204]
	v_mul_f64 v[205:206], v[170:171], s[42:43]
	v_fma_f64 v[207:208], v[186:187], s[14:15], v[152:153]
	v_mul_f64 v[209:210], v[170:171], s[36:37]
	v_add_f64 v[162:163], v[178:179], v[162:163]
	v_mul_f64 v[178:179], v[170:171], s[34:35]
	v_add_f64 v[174:175], v[176:177], v[174:175]
	v_mul_f64 v[170:171], v[170:171], s[16:17]
	v_add_f64 v[176:177], v[74:75], -v[70:71]
	v_fma_f64 v[203:204], v[186:187], s[6:7], v[172:173]
	v_fma_f64 v[172:173], v[186:187], s[6:7], -v[172:173]
	v_add_f64 v[164:165], v[182:183], v[164:165]
	v_add_f64 v[166:167], v[124:125], v[166:167]
	;; [unrolled: 1-line block ×5, first 2 shown]
	v_fma_f64 v[152:153], v[186:187], s[14:15], -v[152:153]
	v_add_f64 v[144:145], v[192:193], v[144:145]
	v_add_f64 v[146:147], v[194:195], v[146:147]
	v_fma_f64 v[182:183], v[186:187], s[22:23], v[197:198]
	v_add_f64 v[92:93], v[180:181], v[92:93]
	v_add_f64 v[148:149], v[199:200], v[148:149]
	;; [unrolled: 1-line block ×3, first 2 shown]
	v_fma_f64 v[180:181], v[186:187], s[22:23], -v[197:198]
	v_fma_f64 v[184:185], v[186:187], s[10:11], v[205:206]
	v_fma_f64 v[188:189], v[186:187], s[10:11], -v[205:206]
	v_fma_f64 v[190:191], v[186:187], s[38:39], v[209:210]
	;; [unrolled: 2-line block ×4, first 2 shown]
	v_fma_f64 v[170:171], v[186:187], s[18:19], -v[170:171]
	v_add_f64 v[186:187], v[68:69], v[72:73]
	v_mul_f64 v[199:200], v[176:177], s[36:37]
	v_mul_f64 v[201:202], v[176:177], s[30:31]
	v_add_f64 v[158:159], v[207:208], v[158:159]
	v_mul_f64 v[207:208], v[176:177], s[28:29]
	v_mul_f64 v[209:210], v[176:177], s[16:17]
	v_add_f64 v[154:155], v[203:204], v[154:155]
	v_add_f64 v[156:157], v[172:173], v[156:157]
	v_mul_f64 v[172:173], v[176:177], s[24:25]
	v_mul_f64 v[203:204], v[176:177], s[34:35]
	;; [unrolled: 1-line block ×4, first 2 shown]
	v_add_f64 v[152:153], v[152:153], v[160:161]
	v_add_f64 v[160:161], v[182:183], v[168:169]
	;; [unrolled: 1-line block ×11, first 2 shown]
	v_fma_f64 v[170:171], v[186:187], s[38:39], v[199:200]
	v_fma_f64 v[174:175], v[186:187], s[10:11], v[201:202]
	v_fma_f64 v[178:179], v[186:187], s[10:11], -v[201:202]
	v_fma_f64 v[197:198], v[186:187], s[6:7], -v[207:208]
	;; [unrolled: 1-line block ×3, first 2 shown]
	v_add_f64 v[142:143], v[194:195], v[142:143]
	v_fma_f64 v[190:191], v[186:187], s[6:7], v[207:208]
	v_fma_f64 v[180:181], v[186:187], s[26:27], v[172:173]
	;; [unrolled: 1-line block ×3, first 2 shown]
	v_fma_f64 v[184:185], v[186:187], s[4:5], -v[203:204]
	v_fma_f64 v[203:204], v[186:187], s[22:23], -v[205:206]
	v_fma_f64 v[188:189], v[186:187], s[22:23], v[205:206]
	v_fma_f64 v[172:173], v[186:187], s[26:27], -v[172:173]
	v_fma_f64 v[192:193], v[186:187], s[18:19], v[209:210]
	v_fma_f64 v[194:195], v[186:187], s[14:15], v[176:177]
	v_fma_f64 v[176:177], v[186:187], s[14:15], -v[176:177]
	v_fma_f64 v[186:187], v[186:187], s[38:39], -v[199:200]
	v_add_f64 v[166:167], v[132:133], v[166:167]
	v_cmp_gt_u32_e64 s0, 48, v196
	v_add_f64 v[148:149], v[170:171], v[148:149]
	v_add_f64 v[154:155], v[174:175], v[154:155]
	;; [unrolled: 1-line block ×5, first 2 shown]
	v_mad_u32_u24 v197, 0x88, v196, 0
	v_add_f64 v[138:139], v[190:191], v[138:139]
	v_add_f64 v[158:159], v[180:181], v[158:159]
	;; [unrolled: 1-line block ×11, first 2 shown]
	ds_write2_b64 v197, v[166:167], v[148:149] offset1:1
	ds_write2_b64 v197, v[154:155], v[158:159] offset0:2 offset1:3
	ds_write2_b64 v197, v[160:161], v[168:169] offset0:4 offset1:5
	;; [unrolled: 1-line block ×7, first 2 shown]
	ds_write_b64 v197, v[150:151] offset:128
	s_and_saveexec_b32 s1, s0
	s_cbranch_execz .LBB0_15
; %bb.14:
	v_add_f64 v[192:193], v[16:17], v[24:25]
	v_add_f64 v[188:189], v[20:21], v[4:5]
	v_add_f64 v[190:191], v[26:27], -v[18:19]
	v_add_f64 v[186:187], v[56:57], v[28:29]
	v_add_f64 v[176:177], v[6:7], -v[22:23]
	;; [unrolled: 2-line block ×6, first 2 shown]
	v_add_f64 v[166:167], v[46:47], -v[54:55]
	v_add_f64 v[160:161], v[12:13], v[8:9]
	v_add_f64 v[164:165], v[10:11], -v[14:15]
	v_mul_f64 v[198:199], v[192:193], s[38:39]
	v_mul_f64 v[162:163], v[188:189], s[10:11]
	;; [unrolled: 1-line block ×15, first 2 shown]
	v_fma_f64 v[200:201], v[190:191], s[56:57], v[198:199]
	v_fma_f64 v[194:195], v[176:177], s[42:43], v[162:163]
	;; [unrolled: 1-line block ×15, first 2 shown]
	v_add_f64 v[200:201], v[0:1], v[200:201]
	v_add_f64 v[204:205], v[0:1], v[204:205]
	;; [unrolled: 1-line block ×12, first 2 shown]
	v_fma_f64 v[150:151], v[176:177], s[30:31], v[162:163]
	v_mul_f64 v[162:163], v[186:187], s[14:15]
	v_add_f64 v[140:141], v[140:141], v[146:147]
	v_fma_f64 v[146:147], v[172:173], s[34:35], v[152:153]
	v_fma_f64 v[152:153], v[190:191], s[36:37], v[198:199]
	v_mul_f64 v[198:199], v[188:189], s[6:7]
	v_fma_f64 v[194:195], v[174:175], s[40:41], v[162:163]
	v_add_f64 v[140:141], v[138:139], v[140:141]
	v_fma_f64 v[138:139], v[166:167], s[16:17], v[142:143]
	v_add_f64 v[152:153], v[0:1], v[152:153]
	v_fma_f64 v[142:143], v[168:169], s[28:29], v[144:145]
	v_fma_f64 v[144:145], v[170:171], s[20:21], v[148:149]
	;; [unrolled: 1-line block ×4, first 2 shown]
	v_mul_f64 v[156:157], v[184:185], s[22:23]
	v_add_f64 v[150:151], v[150:151], v[152:153]
	v_mul_f64 v[152:153], v[182:183], s[10:11]
	v_add_f64 v[200:201], v[200:201], v[204:205]
	v_fma_f64 v[158:159], v[172:173], s[20:21], v[156:157]
	v_add_f64 v[148:149], v[148:149], v[150:151]
	v_fma_f64 v[154:155], v[170:171], s[30:31], v[152:153]
	v_add_f64 v[194:195], v[194:195], v[200:201]
	v_add_f64 v[146:147], v[146:147], v[148:149]
	v_mul_f64 v[148:149], v[180:181], s[38:39]
	v_add_f64 v[158:159], v[158:159], v[194:195]
	v_add_f64 v[144:145], v[144:145], v[146:147]
	v_fma_f64 v[150:151], v[168:169], s[56:57], v[148:149]
	v_add_f64 v[154:155], v[154:155], v[158:159]
	v_add_f64 v[142:143], v[142:143], v[144:145]
	;; [unrolled: 1-line block ×3, first 2 shown]
	v_fma_f64 v[154:155], v[176:177], s[28:29], v[198:199]
	v_mul_f64 v[198:199], v[186:187], s[10:11]
	v_add_f64 v[138:139], v[138:139], v[142:143]
	v_mul_f64 v[142:143], v[178:179], s[4:5]
	v_fma_f64 v[200:201], v[174:175], s[30:31], v[198:199]
	v_add_f64 v[144:145], v[92:93], v[138:139]
	v_fma_f64 v[146:147], v[166:167], s[44:45], v[142:143]
	v_mul_f64 v[138:139], v[160:161], s[18:19]
	v_fma_f64 v[142:143], v[166:167], s[34:35], v[142:143]
	v_add_f64 v[146:147], v[146:147], v[150:151]
	v_fma_f64 v[150:151], v[172:173], s[54:55], v[156:157]
	v_fma_f64 v[156:157], v[190:191], s[24:25], v[202:203]
	;; [unrolled: 1-line block ×3, first 2 shown]
	v_mul_f64 v[202:203], v[188:189], s[18:19]
	v_fma_f64 v[138:139], v[164:165], s[16:17], v[138:139]
	v_add_f64 v[156:157], v[0:1], v[156:157]
	v_add_f64 v[92:93], v[92:93], v[146:147]
	v_fma_f64 v[146:147], v[168:169], s[36:37], v[148:149]
	v_fma_f64 v[148:149], v[170:171], s[42:43], v[152:153]
	v_fma_f64 v[152:153], v[174:175], s[46:47], v[162:163]
	v_fma_f64 v[204:205], v[176:177], s[16:17], v[202:203]
	v_mul_f64 v[162:163], v[184:185], s[26:27]
	v_add_f64 v[154:155], v[154:155], v[156:157]
	v_mul_f64 v[156:157], v[182:183], s[14:15]
	v_add_f64 v[204:205], v[204:205], v[208:209]
	v_fma_f64 v[194:195], v[172:173], s[52:53], v[162:163]
	v_add_f64 v[152:153], v[152:153], v[154:155]
	v_fma_f64 v[158:159], v[170:171], s[46:47], v[156:157]
	v_add_f64 v[200:201], v[200:201], v[204:205]
	v_add_f64 v[150:151], v[150:151], v[152:153]
	v_mul_f64 v[152:153], v[180:181], s[4:5]
	v_add_f64 v[194:195], v[194:195], v[200:201]
	v_add_f64 v[148:149], v[148:149], v[150:151]
	v_fma_f64 v[154:155], v[168:169], s[34:35], v[152:153]
	v_add_f64 v[158:159], v[158:159], v[194:195]
	v_add_f64 v[146:147], v[146:147], v[148:149]
	;; [unrolled: 1-line block ×3, first 2 shown]
	v_fma_f64 v[158:159], v[176:177], s[50:51], v[202:203]
	v_mul_f64 v[202:203], v[186:187], s[4:5]
	v_add_f64 v[142:143], v[142:143], v[146:147]
	v_mul_f64 v[146:147], v[178:179], s[38:39]
	v_fma_f64 v[204:205], v[174:175], s[44:45], v[202:203]
	v_add_f64 v[148:149], v[138:139], v[142:143]
	v_fma_f64 v[150:151], v[166:167], s[56:57], v[146:147]
	v_mul_f64 v[138:139], v[160:161], s[6:7]
	v_fma_f64 v[146:147], v[166:167], s[36:37], v[146:147]
	v_add_f64 v[150:151], v[150:151], v[154:155]
	v_fma_f64 v[154:155], v[172:173], s[24:25], v[162:163]
	v_fma_f64 v[162:163], v[190:191], s[20:21], v[206:207]
	;; [unrolled: 1-line block ×3, first 2 shown]
	v_mul_f64 v[206:207], v[188:189], s[26:27]
	v_fma_f64 v[138:139], v[164:165], s[28:29], v[138:139]
	v_add_f64 v[162:163], v[0:1], v[162:163]
	v_add_f64 v[142:143], v[142:143], v[150:151]
	v_fma_f64 v[150:151], v[168:169], s[44:45], v[152:153]
	v_fma_f64 v[152:153], v[170:171], s[40:41], v[156:157]
	;; [unrolled: 1-line block ×4, first 2 shown]
	v_mul_f64 v[198:199], v[184:185], s[6:7]
	v_add_f64 v[158:159], v[158:159], v[162:163]
	v_mul_f64 v[162:163], v[182:183], s[38:39]
	v_add_f64 v[208:209], v[208:209], v[212:213]
	v_fma_f64 v[200:201], v[172:173], s[28:29], v[198:199]
	v_add_f64 v[156:157], v[156:157], v[158:159]
	v_fma_f64 v[194:195], v[170:171], s[56:57], v[162:163]
	v_add_f64 v[204:205], v[204:205], v[208:209]
	v_add_f64 v[154:155], v[154:155], v[156:157]
	v_mul_f64 v[156:157], v[180:181], s[14:15]
	v_add_f64 v[200:201], v[200:201], v[204:205]
	v_add_f64 v[152:153], v[152:153], v[154:155]
	v_fma_f64 v[158:159], v[168:169], s[46:47], v[156:157]
	v_add_f64 v[194:195], v[194:195], v[200:201]
	v_add_f64 v[150:151], v[150:151], v[152:153]
	v_mul_f64 v[152:153], v[178:179], s[10:11]
	v_add_f64 v[158:159], v[158:159], v[194:195]
	v_fma_f64 v[194:195], v[176:177], s[52:53], v[206:207]
	v_mul_f64 v[206:207], v[186:187], s[18:19]
	v_add_f64 v[146:147], v[146:147], v[150:151]
	v_fma_f64 v[154:155], v[166:167], s[30:31], v[152:153]
	v_fma_f64 v[152:153], v[166:167], s[42:43], v[152:153]
	;; [unrolled: 1-line block ×3, first 2 shown]
	v_add_f64 v[150:151], v[138:139], v[146:147]
	v_mul_f64 v[146:147], v[160:161], s[22:23]
	v_add_f64 v[154:155], v[154:155], v[158:159]
	v_fma_f64 v[158:159], v[172:173], s[48:49], v[198:199]
	v_fma_f64 v[198:199], v[190:191], s[16:17], v[210:211]
	v_mul_f64 v[210:211], v[188:189], s[38:39]
	v_fma_f64 v[138:139], v[164:165], s[54:55], v[146:147]
	v_fma_f64 v[146:147], v[164:165], s[20:21], v[146:147]
	v_add_f64 v[198:199], v[0:1], v[198:199]
	v_fma_f64 v[212:213], v[176:177], s[56:57], v[210:211]
	v_add_f64 v[138:139], v[138:139], v[154:155]
	v_fma_f64 v[154:155], v[168:169], s[40:41], v[156:157]
	v_fma_f64 v[156:157], v[170:171], s[36:37], v[162:163]
	;; [unrolled: 1-line block ×3, first 2 shown]
	v_add_f64 v[194:195], v[194:195], v[198:199]
	v_mul_f64 v[202:203], v[184:185], s[10:11]
	v_add_f64 v[212:213], v[212:213], v[216:217]
	v_mul_f64 v[198:199], v[182:183], s[6:7]
	v_add_f64 v[162:163], v[162:163], v[194:195]
	v_fma_f64 v[204:205], v[172:173], s[42:43], v[202:203]
	v_add_f64 v[208:209], v[208:209], v[212:213]
	v_fma_f64 v[200:201], v[170:171], s[28:29], v[198:199]
	v_add_f64 v[158:159], v[158:159], v[162:163]
	v_mul_f64 v[162:163], v[180:181], s[26:27]
	v_add_f64 v[204:205], v[204:205], v[208:209]
	v_add_f64 v[156:157], v[156:157], v[158:159]
	v_fma_f64 v[194:195], v[168:169], s[52:53], v[162:163]
	v_add_f64 v[200:201], v[200:201], v[204:205]
	v_add_f64 v[154:155], v[154:155], v[156:157]
	v_mul_f64 v[156:157], v[178:179], s[22:23]
	v_add_f64 v[194:195], v[194:195], v[200:201]
	v_fma_f64 v[200:201], v[176:177], s[36:37], v[210:211]
	v_mul_f64 v[210:211], v[186:187], s[38:39]
	v_add_f64 v[152:153], v[152:153], v[154:155]
	v_fma_f64 v[158:159], v[166:167], s[20:21], v[156:157]
	v_mul_f64 v[154:155], v[160:161], s[4:5]
	v_fma_f64 v[156:157], v[166:167], s[54:55], v[156:157]
	v_fma_f64 v[212:213], v[174:175], s[36:37], v[210:211]
	v_add_f64 v[152:153], v[146:147], v[152:153]
	v_add_f64 v[158:159], v[158:159], v[194:195]
	v_fma_f64 v[194:195], v[172:173], s[30:31], v[202:203]
	v_fma_f64 v[202:203], v[190:191], s[46:47], v[214:215]
	;; [unrolled: 1-line block ×3, first 2 shown]
	v_mul_f64 v[214:215], v[188:189], s[22:23]
	v_fma_f64 v[154:155], v[164:165], s[34:35], v[154:155]
	v_add_f64 v[202:203], v[0:1], v[202:203]
	v_add_f64 v[146:147], v[146:147], v[158:159]
	v_fma_f64 v[158:159], v[168:169], s[24:25], v[162:163]
	v_fma_f64 v[162:163], v[170:171], s[48:49], v[198:199]
	;; [unrolled: 1-line block ×4, first 2 shown]
	v_mul_f64 v[206:207], v[184:185], s[18:19]
	v_add_f64 v[200:201], v[200:201], v[202:203]
	v_mul_f64 v[202:203], v[182:183], s[4:5]
	v_add_f64 v[216:217], v[216:217], v[220:221]
	v_fma_f64 v[208:209], v[172:173], s[16:17], v[206:207]
	v_add_f64 v[198:199], v[198:199], v[200:201]
	v_fma_f64 v[204:205], v[170:171], s[44:45], v[202:203]
	v_add_f64 v[212:213], v[212:213], v[216:217]
	v_add_f64 v[194:195], v[194:195], v[198:199]
	v_mul_f64 v[198:199], v[180:181], s[10:11]
	v_add_f64 v[208:209], v[208:209], v[212:213]
	v_add_f64 v[162:163], v[162:163], v[194:195]
	v_fma_f64 v[200:201], v[168:169], s[30:31], v[198:199]
	v_add_f64 v[204:205], v[204:205], v[208:209]
	v_add_f64 v[158:159], v[158:159], v[162:163]
	v_mul_f64 v[162:163], v[178:179], s[14:15]
	v_add_f64 v[200:201], v[200:201], v[204:205]
	v_fma_f64 v[204:205], v[176:177], s[20:21], v[214:215]
	v_mul_f64 v[214:215], v[186:187], s[22:23]
	v_mul_f64 v[186:187], v[186:187], s[6:7]
	v_add_f64 v[156:157], v[156:157], v[158:159]
	v_fma_f64 v[194:195], v[166:167], s[40:41], v[162:163]
	v_mul_f64 v[158:159], v[160:161], s[26:27]
	v_fma_f64 v[162:163], v[166:167], s[46:47], v[162:163]
	v_fma_f64 v[216:217], v[174:175], s[54:55], v[214:215]
	v_add_f64 v[154:155], v[154:155], v[156:157]
	v_add_f64 v[194:195], v[194:195], v[200:201]
	v_fma_f64 v[200:201], v[172:173], s[50:51], v[206:207]
	v_fma_f64 v[206:207], v[190:191], s[48:49], v[218:219]
	;; [unrolled: 1-line block ×3, first 2 shown]
	v_mul_f64 v[218:219], v[188:189], s[14:15]
	v_fma_f64 v[158:159], v[164:165], s[24:25], v[158:159]
	v_mul_f64 v[188:189], v[188:189], s[4:5]
	v_add_f64 v[206:207], v[0:1], v[206:207]
	v_add_f64 v[156:157], v[156:157], v[194:195]
	v_fma_f64 v[194:195], v[168:169], s[42:43], v[198:199]
	v_fma_f64 v[198:199], v[170:171], s[34:35], v[202:203]
	;; [unrolled: 1-line block ×4, first 2 shown]
	v_mul_f64 v[210:211], v[184:185], s[38:39]
	v_mul_f64 v[184:185], v[184:185], s[14:15]
	v_add_f64 v[204:205], v[204:205], v[206:207]
	v_mul_f64 v[206:207], v[182:183], s[26:27]
	v_mul_f64 v[182:183], v[182:183], s[18:19]
	v_add_f64 v[220:221], v[220:221], v[224:225]
	v_fma_f64 v[212:213], v[172:173], s[56:57], v[210:211]
	v_add_f64 v[202:203], v[202:203], v[204:205]
	v_fma_f64 v[208:209], v[170:171], s[24:25], v[206:207]
	v_add_f64 v[216:217], v[216:217], v[220:221]
	v_add_f64 v[200:201], v[200:201], v[202:203]
	v_mul_f64 v[202:203], v[180:181], s[18:19]
	v_mul_f64 v[180:181], v[180:181], s[22:23]
	v_add_f64 v[212:213], v[212:213], v[216:217]
	v_add_f64 v[198:199], v[198:199], v[200:201]
	v_fma_f64 v[204:205], v[168:169], s[16:17], v[202:203]
	v_add_f64 v[208:209], v[208:209], v[212:213]
	v_fma_f64 v[212:213], v[190:191], s[30:31], v[192:193]
	v_add_f64 v[194:195], v[194:195], v[198:199]
	v_mul_f64 v[198:199], v[178:179], s[6:7]
	v_mul_f64 v[178:179], v[178:179], s[26:27]
	v_add_f64 v[204:205], v[204:205], v[208:209]
	v_fma_f64 v[208:209], v[176:177], s[46:47], v[218:219]
	v_add_f64 v[212:213], v[0:1], v[212:213]
	v_add_f64 v[162:163], v[162:163], v[194:195]
	v_fma_f64 v[200:201], v[166:167], s[48:49], v[198:199]
	v_mul_f64 v[194:195], v[160:161], s[10:11]
	v_fma_f64 v[198:199], v[166:167], s[28:29], v[198:199]
	v_add_f64 v[162:163], v[158:159], v[162:163]
	v_add_f64 v[200:201], v[200:201], v[204:205]
	v_fma_f64 v[204:205], v[172:173], s[36:37], v[210:211]
	v_fma_f64 v[210:211], v[190:191], s[44:45], v[222:223]
	;; [unrolled: 1-line block ×4, first 2 shown]
	v_add_f64 v[210:211], v[0:1], v[210:211]
	v_add_f64 v[158:159], v[158:159], v[200:201]
	v_fma_f64 v[200:201], v[168:169], s[50:51], v[202:203]
	v_fma_f64 v[202:203], v[170:171], s[52:53], v[206:207]
	;; [unrolled: 1-line block ×3, first 2 shown]
	v_add_f64 v[208:209], v[208:209], v[210:211]
	v_fma_f64 v[210:211], v[176:177], s[34:35], v[188:189]
	v_fma_f64 v[176:177], v[176:177], s[44:45], v[188:189]
	v_add_f64 v[206:207], v[206:207], v[208:209]
	v_fma_f64 v[208:209], v[174:175], s[28:29], v[186:187]
	v_fma_f64 v[174:175], v[174:175], s[48:49], v[186:187]
	v_add_f64 v[210:211], v[210:211], v[212:213]
	v_add_f64 v[204:205], v[204:205], v[206:207]
	v_fma_f64 v[206:207], v[172:173], s[40:41], v[184:185]
	v_fma_f64 v[172:173], v[172:173], s[46:47], v[184:185]
	v_add_f64 v[208:209], v[208:209], v[210:211]
	;; [unrolled: 4-line block ×4, first 2 shown]
	v_add_f64 v[198:199], v[198:199], v[200:201]
	v_fma_f64 v[200:201], v[166:167], s[52:53], v[178:179]
	v_fma_f64 v[166:167], v[166:167], s[24:25], v[178:179]
	;; [unrolled: 1-line block ×3, first 2 shown]
	v_add_f64 v[202:203], v[202:203], v[204:205]
	v_add_f64 v[194:195], v[194:195], v[198:199]
	v_mul_f64 v[198:199], v[160:161], s[38:39]
	v_add_f64 v[178:179], v[0:1], v[178:179]
	v_add_f64 v[0:1], v[24:25], v[0:1]
	;; [unrolled: 1-line block ×3, first 2 shown]
	v_fma_f64 v[160:161], v[164:165], s[56:57], v[198:199]
	v_fma_f64 v[164:165], v[164:165], s[36:37], v[198:199]
	v_add_f64 v[176:177], v[176:177], v[178:179]
	v_add_f64 v[0:1], v[4:5], v[0:1]
	;; [unrolled: 1-line block ×15, first 2 shown]
	v_add_nc_u32_e32 v166, 0x1b18, v197
	v_add_f64 v[0:1], v[12:13], v[0:1]
	v_add_f64 v[0:1], v[52:53], v[0:1]
	;; [unrolled: 1-line block ×8, first 2 shown]
	ds_write2_b64 v166, v[0:1], v[164:165] offset1:1
	v_add_nc_u32_e32 v0, 0x1b28, v197
	ds_write2_b64 v0, v[194:195], v[162:163] offset1:1
	v_add_nc_u32_e32 v0, 0x1b38, v197
	;; [unrolled: 2-line block ×7, first 2 shown]
	ds_write2_b64 v0, v[156:157], v[158:159] offset1:1
	ds_write_b64 v197, v[160:161] offset:7064
.LBB0_15:
	s_or_b32 exec_lo, exec_lo, s1
	v_add_f64 v[0:1], v[106:107], v[94:95]
	v_add_f64 v[104:105], v[104:105], -v[132:133]
	v_add_f64 v[92:93], v[134:135], v[106:107]
	v_add_f64 v[100:101], v[100:101], -v[124:125]
	v_add_f64 v[88:89], v[88:89], -v[120:121]
	;; [unrolled: 1-line block ×6, first 2 shown]
	s_waitcnt lgkmcnt(0)
	s_barrier
	buffer_gl0_inv
	v_add_nc_u32_e32 v186, 51, v196
	v_add_f64 v[0:1], v[114:115], v[0:1]
	v_mul_f64 v[106:107], v[104:105], s[42:43]
	v_mul_f64 v[140:141], v[104:105], s[48:49]
	;; [unrolled: 1-line block ×8, first 2 shown]
	v_add_f64 v[0:1], v[102:103], v[0:1]
	v_fma_f64 v[132:133], v[92:93], s[10:11], -v[106:107]
	v_fma_f64 v[106:107], v[92:93], s[10:11], v[106:107]
	v_fma_f64 v[142:143], v[92:93], s[6:7], -v[140:141]
	v_fma_f64 v[140:141], v[92:93], s[6:7], v[140:141]
	;; [unrolled: 2-line block ×6, first 2 shown]
	v_add_f64 v[0:1], v[90:91], v[0:1]
	v_add_f64 v[132:133], v[94:95], v[132:133]
	;; [unrolled: 1-line block ×23, first 2 shown]
	v_fma_f64 v[74:75], v[70:71], s[38:39], -v[72:73]
	v_fma_f64 v[72:73], v[70:71], s[38:39], v[72:73]
	v_add_f64 v[0:1], v[110:111], v[0:1]
	v_fma_f64 v[78:79], v[98:99], s[26:27], -v[76:77]
	v_fma_f64 v[76:77], v[98:99], s[26:27], v[76:77]
	v_add_f64 v[0:1], v[118:119], v[0:1]
	v_mul_f64 v[118:119], v[80:81], s[40:41]
	v_add_f64 v[0:1], v[122:123], v[0:1]
	v_mul_f64 v[122:123], v[88:89], s[48:49]
	v_add_f64 v[0:1], v[126:127], v[0:1]
	v_add_f64 v[0:1], v[130:131], v[0:1]
	;; [unrolled: 1-line block ×3, first 2 shown]
	v_mul_f64 v[134:135], v[104:105], s[44:45]
	v_mul_f64 v[104:105], v[104:105], s[36:37]
	v_fma_f64 v[138:139], v[92:93], s[4:5], -v[134:135]
	v_fma_f64 v[134:135], v[92:93], s[4:5], v[134:135]
	v_fma_f64 v[160:161], v[92:93], s[38:39], -v[104:105]
	v_fma_f64 v[92:93], v[92:93], s[38:39], v[104:105]
	v_add_f64 v[104:105], v[112:113], -v[128:129]
	v_add_f64 v[138:139], v[94:95], v[138:139]
	v_add_f64 v[134:135], v[94:95], v[134:135]
	;; [unrolled: 1-line block ×5, first 2 shown]
	v_mul_f64 v[112:113], v[104:105], s[44:45]
	v_mul_f64 v[130:131], v[104:105], s[20:21]
	v_fma_f64 v[114:115], v[94:95], s[4:5], -v[112:113]
	v_fma_f64 v[112:113], v[94:95], s[4:5], v[112:113]
	v_add_f64 v[114:115], v[114:115], v[132:133]
	v_add_f64 v[106:107], v[112:113], v[106:107]
	v_mul_f64 v[112:113], v[104:105], s[46:47]
	v_fma_f64 v[132:133], v[94:95], s[22:23], -v[130:131]
	v_fma_f64 v[130:131], v[94:95], s[22:23], v[130:131]
	v_fma_f64 v[128:129], v[94:95], s[14:15], -v[112:113]
	v_fma_f64 v[112:113], v[94:95], s[14:15], v[112:113]
	v_add_f64 v[130:131], v[130:131], v[140:141]
	v_mul_f64 v[140:141], v[104:105], s[52:53]
	v_add_f64 v[132:133], v[132:133], v[142:143]
	v_add_f64 v[128:129], v[128:129], v[138:139]
	;; [unrolled: 1-line block ×3, first 2 shown]
	v_mul_f64 v[134:135], v[104:105], s[36:37]
	v_fma_f64 v[142:143], v[94:95], s[26:27], -v[140:141]
	v_fma_f64 v[140:141], v[94:95], s[26:27], v[140:141]
	v_fma_f64 v[138:139], v[94:95], s[38:39], -v[134:135]
	v_fma_f64 v[134:135], v[94:95], s[38:39], v[134:135]
	v_add_f64 v[140:141], v[140:141], v[148:149]
	v_mul_f64 v[148:149], v[104:105], s[28:29]
	v_add_f64 v[142:143], v[142:143], v[150:151]
	v_add_f64 v[138:139], v[138:139], v[146:147]
	;; [unrolled: 1-line block ×3, first 2 shown]
	v_mul_f64 v[144:145], v[104:105], s[50:51]
	v_mul_f64 v[104:105], v[104:105], s[30:31]
	v_fma_f64 v[150:151], v[94:95], s[6:7], -v[148:149]
	v_fma_f64 v[148:149], v[94:95], s[6:7], v[148:149]
	v_fma_f64 v[146:147], v[94:95], s[18:19], -v[144:145]
	v_fma_f64 v[144:145], v[94:95], s[18:19], v[144:145]
	v_add_f64 v[150:151], v[150:151], v[158:159]
	v_add_f64 v[148:149], v[148:149], v[156:157]
	;; [unrolled: 1-line block ×4, first 2 shown]
	v_fma_f64 v[152:153], v[94:95], s[10:11], -v[104:105]
	v_fma_f64 v[94:95], v[94:95], s[10:11], v[104:105]
	v_add_f64 v[152:153], v[152:153], v[160:161]
	v_add_f64 v[92:93], v[94:95], v[92:93]
	;; [unrolled: 1-line block ×3, first 2 shown]
	v_mul_f64 v[102:103], v[100:101], s[48:49]
	v_mul_f64 v[126:127], v[100:101], s[50:51]
	v_fma_f64 v[104:105], v[94:95], s[6:7], -v[102:103]
	v_fma_f64 v[102:103], v[94:95], s[6:7], v[102:103]
	v_add_f64 v[104:105], v[104:105], v[114:115]
	v_add_f64 v[102:103], v[102:103], v[106:107]
	v_mul_f64 v[106:107], v[100:101], s[20:21]
	v_fma_f64 v[114:115], v[94:95], s[22:23], -v[106:107]
	v_fma_f64 v[106:107], v[94:95], s[22:23], v[106:107]
	v_add_f64 v[114:115], v[114:115], v[128:129]
	v_add_f64 v[106:107], v[106:107], v[112:113]
	v_mul_f64 v[112:113], v[100:101], s[56:57]
	v_fma_f64 v[128:129], v[94:95], s[18:19], -v[126:127]
	v_fma_f64 v[126:127], v[94:95], s[18:19], v[126:127]
	v_fma_f64 v[124:125], v[94:95], s[38:39], -v[112:113]
	v_fma_f64 v[112:113], v[94:95], s[38:39], v[112:113]
	v_add_f64 v[126:127], v[126:127], v[134:135]
	v_mul_f64 v[134:135], v[100:101], s[42:43]
	v_add_f64 v[128:129], v[128:129], v[138:139]
	v_add_f64 v[124:125], v[124:125], v[132:133]
	;; [unrolled: 1-line block ×3, first 2 shown]
	v_mul_f64 v[130:131], v[100:101], s[34:35]
	v_fma_f64 v[138:139], v[94:95], s[10:11], -v[134:135]
	v_fma_f64 v[134:135], v[94:95], s[10:11], v[134:135]
	v_fma_f64 v[132:133], v[94:95], s[4:5], -v[130:131]
	v_fma_f64 v[130:131], v[94:95], s[4:5], v[130:131]
	v_add_f64 v[134:135], v[134:135], v[144:145]
	v_add_f64 v[138:139], v[138:139], v[146:147]
	;; [unrolled: 1-line block ×4, first 2 shown]
	v_mul_f64 v[140:141], v[100:101], s[46:47]
	v_mul_f64 v[100:101], v[100:101], s[24:25]
	v_fma_f64 v[142:143], v[94:95], s[14:15], -v[140:141]
	v_fma_f64 v[140:141], v[94:95], s[14:15], v[140:141]
	v_fma_f64 v[144:145], v[94:95], s[26:27], -v[100:101]
	v_fma_f64 v[94:95], v[94:95], s[26:27], v[100:101]
	v_add_f64 v[142:143], v[142:143], v[150:151]
	v_add_f64 v[140:141], v[140:141], v[148:149]
	;; [unrolled: 1-line block ×4, first 2 shown]
	v_mul_f64 v[94:95], v[88:89], s[46:47]
	v_fma_f64 v[100:101], v[90:91], s[14:15], -v[94:95]
	v_fma_f64 v[94:95], v[90:91], s[14:15], v[94:95]
	v_add_f64 v[100:101], v[100:101], v[104:105]
	v_add_f64 v[94:95], v[94:95], v[102:103]
	v_mul_f64 v[102:103], v[88:89], s[36:37]
	v_fma_f64 v[104:105], v[90:91], s[38:39], -v[102:103]
	v_fma_f64 v[102:103], v[90:91], s[38:39], v[102:103]
	v_add_f64 v[104:105], v[104:105], v[114:115]
	v_add_f64 v[102:103], v[102:103], v[106:107]
	;; [unrolled: 5-line block ×3, first 2 shown]
	v_mul_f64 v[112:113], v[88:89], s[30:31]
	v_fma_f64 v[124:125], v[90:91], s[6:7], -v[122:123]
	v_fma_f64 v[122:123], v[90:91], s[6:7], v[122:123]
	v_fma_f64 v[120:121], v[90:91], s[10:11], -v[112:113]
	v_fma_f64 v[112:113], v[90:91], s[10:11], v[112:113]
	v_add_f64 v[122:123], v[122:123], v[130:131]
	v_mul_f64 v[130:131], v[88:89], s[54:55]
	v_add_f64 v[124:125], v[124:125], v[132:133]
	v_add_f64 v[120:121], v[120:121], v[128:129]
	;; [unrolled: 1-line block ×3, first 2 shown]
	v_mul_f64 v[126:127], v[88:89], s[24:25]
	v_mul_f64 v[88:89], v[88:89], s[34:35]
	v_fma_f64 v[132:133], v[90:91], s[22:23], -v[130:131]
	v_fma_f64 v[130:131], v[90:91], s[22:23], v[130:131]
	v_fma_f64 v[128:129], v[90:91], s[26:27], -v[126:127]
	v_fma_f64 v[126:127], v[90:91], s[26:27], v[126:127]
	v_add_f64 v[132:133], v[132:133], v[142:143]
	v_add_f64 v[130:131], v[130:131], v[140:141]
	;; [unrolled: 1-line block ×4, first 2 shown]
	v_fma_f64 v[134:135], v[90:91], s[4:5], -v[88:89]
	v_fma_f64 v[88:89], v[90:91], s[4:5], v[88:89]
	v_mul_f64 v[90:91], v[80:81], s[16:17]
	v_add_f64 v[134:135], v[134:135], v[144:145]
	v_add_f64 v[88:89], v[88:89], v[92:93]
	v_fma_f64 v[92:93], v[82:83], s[18:19], -v[90:91]
	v_fma_f64 v[90:91], v[82:83], s[18:19], v[90:91]
	v_add_f64 v[92:93], v[92:93], v[100:101]
	v_add_f64 v[90:91], v[90:91], v[94:95]
	v_mul_f64 v[94:95], v[80:81], s[52:53]
	v_fma_f64 v[100:101], v[82:83], s[26:27], -v[94:95]
	v_fma_f64 v[94:95], v[82:83], s[26:27], v[94:95]
	v_add_f64 v[100:101], v[100:101], v[104:105]
	v_add_f64 v[94:95], v[94:95], v[102:103]
	v_mul_f64 v[102:103], v[80:81], s[34:35]
	;; [unrolled: 5-line block ×4, first 2 shown]
	v_fma_f64 v[120:121], v[82:83], s[14:15], -v[118:119]
	v_fma_f64 v[118:119], v[82:83], s[14:15], v[118:119]
	v_fma_f64 v[116:117], v[82:83], s[38:39], -v[112:113]
	v_fma_f64 v[112:113], v[82:83], s[38:39], v[112:113]
	v_add_f64 v[118:119], v[118:119], v[126:127]
	v_add_f64 v[120:121], v[120:121], v[128:129]
	;; [unrolled: 1-line block ×4, first 2 shown]
	v_mul_f64 v[122:123], v[80:81], s[42:43]
	v_mul_f64 v[80:81], v[80:81], s[20:21]
	v_fma_f64 v[124:125], v[82:83], s[10:11], -v[122:123]
	v_fma_f64 v[122:123], v[82:83], s[10:11], v[122:123]
	v_fma_f64 v[126:127], v[82:83], s[22:23], -v[80:81]
	v_fma_f64 v[80:81], v[82:83], s[22:23], v[80:81]
	v_add_f64 v[82:83], v[110:111], v[86:87]
	v_mul_f64 v[86:87], v[84:85], s[20:21]
	v_add_f64 v[124:125], v[124:125], v[132:133]
	v_add_f64 v[122:123], v[122:123], v[130:131]
	;; [unrolled: 1-line block ×4, first 2 shown]
	v_fma_f64 v[88:89], v[82:83], s[22:23], -v[86:87]
	v_fma_f64 v[86:87], v[82:83], s[22:23], v[86:87]
	v_add_f64 v[88:89], v[88:89], v[92:93]
	v_add_f64 v[86:87], v[86:87], v[90:91]
	v_mul_f64 v[90:91], v[84:85], s[50:51]
	v_fma_f64 v[92:93], v[82:83], s[18:19], -v[90:91]
	v_fma_f64 v[90:91], v[82:83], s[18:19], v[90:91]
	v_add_f64 v[92:93], v[92:93], v[100:101]
	v_add_f64 v[90:91], v[90:91], v[94:95]
	v_mul_f64 v[94:95], v[84:85], s[42:43]
	v_fma_f64 v[100:101], v[82:83], s[10:11], -v[94:95]
	v_fma_f64 v[94:95], v[82:83], s[10:11], v[94:95]
	v_add_f64 v[108:109], v[100:101], v[104:105]
	v_mul_f64 v[100:101], v[84:85], s[24:25]
	v_add_f64 v[94:95], v[94:95], v[102:103]
	v_add_f64 v[104:105], v[78:79], v[88:89]
	v_fma_f64 v[102:103], v[82:83], s[26:27], -v[100:101]
	v_fma_f64 v[100:101], v[82:83], s[26:27], v[100:101]
	v_add_f64 v[150:151], v[74:75], v[104:105]
	v_add_f64 v[110:111], v[102:103], v[114:115]
	;; [unrolled: 1-line block ×3, first 2 shown]
	v_mul_f64 v[100:101], v[84:85], s[40:41]
	v_add_f64 v[106:107], v[76:77], v[86:87]
	v_mul_f64 v[76:77], v[96:97], s[28:29]
	v_mul_f64 v[86:87], v[96:97], s[42:43]
	v_fma_f64 v[102:103], v[82:83], s[14:15], -v[100:101]
	v_fma_f64 v[100:101], v[82:83], s[14:15], v[100:101]
	v_fma_f64 v[78:79], v[98:99], s[6:7], -v[76:77]
	v_fma_f64 v[76:77], v[98:99], s[6:7], v[76:77]
	v_add_f64 v[134:135], v[72:73], v[106:107]
	v_mul_f64 v[72:73], v[68:69], s[30:31]
	v_add_f64 v[116:117], v[102:103], v[116:117]
	v_add_f64 v[112:113], v[100:101], v[112:113]
	v_mul_f64 v[100:101], v[84:85], s[44:45]
	v_fma_f64 v[74:75], v[70:71], s[10:11], -v[72:73]
	v_fma_f64 v[72:73], v[70:71], s[10:11], v[72:73]
	v_fma_f64 v[102:103], v[82:83], s[4:5], -v[100:101]
	v_fma_f64 v[100:101], v[82:83], s[4:5], v[100:101]
	v_add_f64 v[120:121], v[102:103], v[120:121]
	v_add_f64 v[118:119], v[100:101], v[118:119]
	v_mul_f64 v[100:101], v[84:85], s[36:37]
	v_mul_f64 v[84:85], v[84:85], s[28:29]
	v_fma_f64 v[102:103], v[82:83], s[38:39], -v[100:101]
	v_fma_f64 v[100:101], v[82:83], s[38:39], v[100:101]
	v_add_f64 v[124:125], v[102:103], v[124:125]
	v_add_f64 v[122:123], v[100:101], v[122:123]
	v_fma_f64 v[100:101], v[82:83], s[6:7], -v[84:85]
	v_add_f64 v[102:103], v[76:77], v[90:91]
	v_fma_f64 v[82:83], v[82:83], s[6:7], v[84:85]
	v_fma_f64 v[84:85], v[98:99], s[10:11], -v[86:87]
	v_fma_f64 v[86:87], v[98:99], s[10:11], v[86:87]
	v_mul_f64 v[90:91], v[96:97], s[36:37]
	v_add_f64 v[126:127], v[100:101], v[126:127]
	v_add_f64 v[100:101], v[78:79], v[92:93]
	v_mul_f64 v[78:79], v[96:97], s[46:47]
	v_add_f64 v[138:139], v[72:73], v[102:103]
	v_mul_f64 v[72:73], v[68:69], s[24:25]
	;; [unrolled: 2-line block ×3, first 2 shown]
	v_add_f64 v[86:87], v[86:87], v[112:113]
	v_add_f64 v[84:85], v[84:85], v[116:117]
	v_fma_f64 v[88:89], v[98:99], s[38:39], -v[90:91]
	v_fma_f64 v[90:91], v[98:99], s[38:39], v[90:91]
	v_add_f64 v[164:165], v[74:75], v[100:101]
	v_fma_f64 v[76:77], v[98:99], s[14:15], -v[78:79]
	v_fma_f64 v[78:79], v[98:99], s[14:15], v[78:79]
	v_fma_f64 v[74:75], v[70:71], s[26:27], -v[72:73]
	v_fma_f64 v[72:73], v[70:71], s[26:27], v[72:73]
	;; [unrolled: 2-line block ×3, first 2 shown]
	v_add_f64 v[88:89], v[88:89], v[120:121]
	v_add_f64 v[90:91], v[90:91], v[118:119]
	;; [unrolled: 1-line block ×4, first 2 shown]
	v_mul_f64 v[94:95], v[96:97], s[34:35]
	v_mul_f64 v[108:109], v[96:97], s[16:17]
	v_add_f64 v[80:81], v[80:81], v[110:111]
	v_add_f64 v[82:83], v[82:83], v[114:115]
	;; [unrolled: 1-line block ×4, first 2 shown]
	v_mul_f64 v[72:73], v[68:69], s[34:35]
	v_fma_f64 v[92:93], v[98:99], s[4:5], -v[94:95]
	v_fma_f64 v[94:95], v[98:99], s[4:5], v[94:95]
	v_fma_f64 v[96:97], v[98:99], s[18:19], -v[108:109]
	v_fma_f64 v[98:99], v[98:99], s[18:19], v[108:109]
	;; [unrolled: 2-line block ×3, first 2 shown]
	v_add_f64 v[94:95], v[94:95], v[122:123]
	v_add_f64 v[92:93], v[92:93], v[124:125]
	;; [unrolled: 1-line block ×6, first 2 shown]
	v_mul_f64 v[72:73], v[68:69], s[20:21]
	v_fma_f64 v[74:75], v[70:71], s[22:23], -v[72:73]
	v_fma_f64 v[72:73], v[70:71], s[22:23], v[72:73]
	v_add_f64 v[162:163], v[74:75], v[84:85]
	v_add_f64 v[144:145], v[72:73], v[86:87]
	v_mul_f64 v[72:73], v[68:69], s[28:29]
	v_fma_f64 v[74:75], v[70:71], s[6:7], -v[72:73]
	v_fma_f64 v[72:73], v[70:71], s[6:7], v[72:73]
	v_add_f64 v[156:157], v[74:75], v[88:89]
	v_add_f64 v[146:147], v[72:73], v[90:91]
	v_mul_f64 v[72:73], v[68:69], s[16:17]
	v_mul_f64 v[68:69], v[68:69], s[40:41]
	v_fma_f64 v[74:75], v[70:71], s[18:19], -v[72:73]
	v_fma_f64 v[72:73], v[70:71], s[18:19], v[72:73]
	v_add_f64 v[158:159], v[74:75], v[92:93]
	v_add_f64 v[148:149], v[72:73], v[94:95]
	v_fma_f64 v[72:73], v[70:71], s[14:15], -v[68:69]
	v_fma_f64 v[68:69], v[70:71], s[14:15], v[68:69]
	v_add_f64 v[152:153], v[72:73], v[96:97]
	v_add_f64 v[154:155], v[68:69], v[98:99]
	v_lshlrev_b32_e32 v68, 7, v196
	v_sub_nc_u32_e32 v187, v197, v68
	v_add_nc_u32_e32 v195, 0xc00, v187
	v_add_nc_u32_e32 v201, 0x2000, v187
	;; [unrolled: 1-line block ×8, first 2 shown]
	ds_read2_b64 v[88:91], v187 offset1:51
	ds_read2_b64 v[68:71], v195 offset0:126 offset1:177
	ds_read2_b64 v[128:131], v201 offset0:98 offset1:149
	;; [unrolled: 1-line block ×15, first 2 shown]
	ds_read_b64 v[132:133], v187 offset:13056
	s_waitcnt lgkmcnt(0)
	s_barrier
	buffer_gl0_inv
	ds_write2_b64 v197, v[0:1], v[150:151] offset1:1
	ds_write2_b64 v197, v[164:165], v[166:167] offset0:2 offset1:3
	ds_write2_b64 v197, v[160:161], v[162:163] offset0:4 offset1:5
	;; [unrolled: 1-line block ×7, first 2 shown]
	ds_write_b64 v197, v[134:135] offset:128
	s_and_saveexec_b32 s33, s0
	s_cbranch_execz .LBB0_17
; %bb.16:
	v_add_f64 v[0:1], v[26:27], v[2:3]
	v_add_f64 v[16:17], v[24:25], -v[16:17]
	s_mov_b32 s20, 0x5d8e7cdc
	s_mov_b32 s24, 0x2a9d6da3
	;; [unrolled: 1-line block ×16, first 2 shown]
	v_add_f64 v[40:41], v[40:41], -v[48:49]
	v_add_f64 v[26:27], v[18:19], v[26:27]
	v_add_f64 v[8:9], v[8:9], -v[12:13]
	v_add_f64 v[4:5], v[4:5], -v[20:21]
	v_add_f64 v[0:1], v[6:7], v[0:1]
	v_mul_f64 v[12:13], v[16:17], s[24:25]
	v_add_f64 v[6:7], v[22:23], v[6:7]
	v_mul_f64 v[20:21], v[16:17], s[22:23]
	v_mul_f64 v[48:49], v[16:17], s[14:15]
	s_mov_b32 s6, 0x75d4884
	s_mov_b32 s4, 0x2b2883cd
	;; [unrolled: 1-line block ×14, first 2 shown]
	v_add_f64 v[44:45], v[44:45], -v[52:53]
	v_add_f64 v[36:37], v[36:37], -v[64:65]
	;; [unrolled: 1-line block ×3, first 2 shown]
	v_add_f64 v[0:1], v[30:31], v[0:1]
	v_add_f64 v[30:31], v[58:59], v[30:31]
	v_add_f64 v[28:29], v[28:29], -v[56:57]
	s_mov_b32 s51, 0x3fe0d888
	v_fma_f64 v[60:61], v[26:27], s[30:31], -v[48:49]
	v_fma_f64 v[48:49], v[26:27], s[30:31], v[48:49]
	s_mov_b32 s49, 0x3feec746
	s_mov_b32 s50, s18
	;; [unrolled: 1-line block ×3, first 2 shown]
	v_mul_f64 v[138:139], v[4:5], s[50:51]
	v_mul_f64 v[140:141], v[4:5], s[48:49]
	s_mov_b32 s41, 0x3feca52d
	s_mov_b32 s43, 0x3fd71e95
	;; [unrolled: 1-line block ×4, first 2 shown]
	v_mul_f64 v[142:143], v[4:5], s[40:41]
	s_mov_b32 s47, 0x3fc7851a
	s_mov_b32 s46, s38
	;; [unrolled: 1-line block ×6, first 2 shown]
	v_add_f64 v[0:1], v[34:35], v[0:1]
	v_add_f64 v[34:35], v[62:63], v[34:35]
	;; [unrolled: 1-line block ×3, first 2 shown]
	v_fma_f64 v[152:153], v[6:7], s[36:37], -v[138:139]
	v_fma_f64 v[154:155], v[6:7], s[30:31], -v[140:141]
	v_fma_f64 v[138:139], v[6:7], s[36:37], v[138:139]
	v_fma_f64 v[140:141], v[6:7], s[30:31], v[140:141]
	v_fma_f64 v[156:157], v[6:7], s[4:5], -v[142:143]
	v_fma_f64 v[142:143], v[6:7], s[4:5], v[142:143]
	v_add_f64 v[0:1], v[38:39], v[0:1]
	v_add_f64 v[38:39], v[66:67], v[38:39]
	;; [unrolled: 1-line block ×3, first 2 shown]
	v_mul_f64 v[138:139], v[28:29], s[20:21]
	v_add_f64 v[0:1], v[42:43], v[0:1]
	v_add_f64 v[42:43], v[50:51], v[42:43]
	;; [unrolled: 1-line block ×6, first 2 shown]
	v_mul_f64 v[134:135], v[4:5], s[38:39]
	v_add_f64 v[46:47], v[14:15], v[46:47]
	v_mul_f64 v[14:15], v[16:17], s[20:21]
	v_fma_f64 v[150:151], v[6:7], s[28:29], -v[134:135]
	v_fma_f64 v[134:135], v[6:7], s[28:29], v[134:135]
	v_add_f64 v[46:47], v[54:55], v[46:47]
	v_fma_f64 v[52:53], v[26:27], s[10:11], -v[14:15]
	v_fma_f64 v[14:15], v[26:27], s[10:11], v[14:15]
	v_fma_f64 v[54:55], v[26:27], s[6:7], -v[12:13]
	v_fma_f64 v[12:13], v[26:27], s[6:7], v[12:13]
	v_add_f64 v[46:47], v[50:51], v[46:47]
	v_mul_f64 v[50:51], v[16:17], s[16:17]
	v_add_f64 v[14:15], v[2:3], v[14:15]
	v_add_f64 v[12:13], v[2:3], v[12:13]
	;; [unrolled: 1-line block ×4, first 2 shown]
	v_fma_f64 v[62:63], v[26:27], s[34:35], -v[50:51]
	v_fma_f64 v[50:51], v[26:27], s[34:35], v[50:51]
	v_add_f64 v[24:25], v[58:59], v[46:47]
	v_mul_f64 v[46:47], v[16:17], s[26:27]
	v_fma_f64 v[58:59], v[26:27], s[0:1], -v[20:21]
	v_fma_f64 v[20:21], v[26:27], s[0:1], v[20:21]
	v_add_f64 v[50:51], v[2:3], v[50:51]
	v_add_f64 v[22:23], v[22:23], v[24:25]
	v_mul_f64 v[24:25], v[16:17], s[18:19]
	v_mul_f64 v[16:17], v[16:17], s[38:39]
	v_fma_f64 v[56:57], v[26:27], s[4:5], -v[46:47]
	v_fma_f64 v[46:47], v[26:27], s[4:5], v[46:47]
	v_add_f64 v[20:21], v[2:3], v[20:21]
	v_add_f64 v[50:51], v[140:141], v[50:51]
	v_mul_f64 v[140:141], v[28:29], s[22:23]
	v_fma_f64 v[64:65], v[26:27], s[36:37], -v[24:25]
	v_fma_f64 v[24:25], v[26:27], s[36:37], v[24:25]
	v_fma_f64 v[66:67], v[26:27], s[28:29], -v[16:17]
	v_fma_f64 v[16:17], v[26:27], s[28:29], v[16:17]
	v_add_f64 v[26:27], v[2:3], v[52:53]
	v_add_f64 v[52:53], v[2:3], v[54:55]
	;; [unrolled: 1-line block ×8, first 2 shown]
	v_mul_f64 v[134:135], v[28:29], s[44:45]
	v_fma_f64 v[160:161], v[30:31], s[0:1], -v[140:141]
	v_fma_f64 v[140:141], v[30:31], s[0:1], v[140:141]
	v_add_f64 v[62:63], v[2:3], v[64:65]
	v_add_f64 v[24:25], v[2:3], v[24:25]
	;; [unrolled: 1-line block ×5, first 2 shown]
	v_mul_f64 v[18:19], v[4:5], s[24:25]
	v_mul_f64 v[22:23], v[4:5], s[22:23]
	v_mul_f64 v[66:67], v[4:5], s[16:17]
	v_mul_f64 v[4:5], v[4:5], s[42:43]
	v_add_f64 v[24:25], v[142:143], v[24:25]
	v_fma_f64 v[144:145], v[6:7], s[6:7], -v[18:19]
	v_fma_f64 v[18:19], v[6:7], s[6:7], v[18:19]
	v_fma_f64 v[146:147], v[6:7], s[0:1], -v[22:23]
	v_fma_f64 v[22:23], v[6:7], s[0:1], v[22:23]
	;; [unrolled: 2-line block ×4, first 2 shown]
	v_add_f64 v[24:25], v[140:141], v[24:25]
	v_add_f64 v[6:7], v[144:145], v[26:27]
	;; [unrolled: 1-line block ×10, first 2 shown]
	v_mul_f64 v[56:57], v[28:29], s[26:27]
	v_mul_f64 v[58:59], v[28:29], s[16:17]
	;; [unrolled: 1-line block ×5, first 2 shown]
	v_fma_f64 v[152:153], v[30:31], s[6:7], -v[134:135]
	v_fma_f64 v[134:135], v[30:31], s[6:7], v[134:135]
	v_fma_f64 v[154:155], v[30:31], s[10:11], -v[138:139]
	v_fma_f64 v[138:139], v[30:31], s[10:11], v[138:139]
	v_add_f64 v[2:3], v[4:5], v[2:3]
	s_mov_b32 s47, 0x3fefdd0d
	s_mov_b32 s46, s22
	v_fma_f64 v[144:145], v[30:31], s[4:5], -v[56:57]
	v_fma_f64 v[56:57], v[30:31], s[4:5], v[56:57]
	v_fma_f64 v[146:147], v[30:31], s[34:35], -v[58:59]
	v_fma_f64 v[148:149], v[30:31], s[28:29], -v[60:61]
	v_fma_f64 v[60:61], v[30:31], s[28:29], v[60:61]
	v_fma_f64 v[150:151], v[30:31], s[30:31], -v[66:67]
	v_fma_f64 v[66:67], v[30:31], s[30:31], v[66:67]
	v_fma_f64 v[58:59], v[30:31], s[34:35], v[58:59]
	v_fma_f64 v[162:163], v[30:31], s[36:37], -v[28:29]
	v_fma_f64 v[28:29], v[30:31], s[36:37], v[28:29]
	v_add_f64 v[30:31], v[156:157], v[62:63]
	v_add_f64 v[62:63], v[158:159], v[64:65]
	v_mul_f64 v[64:65], v[32:33], s[26:27]
	v_add_f64 v[48:49], v[134:135], v[48:49]
	v_mul_f64 v[134:135], v[32:33], s[52:53]
	v_add_f64 v[50:51], v[138:139], v[50:51]
	v_add_f64 v[4:5], v[144:145], v[6:7]
	;; [unrolled: 1-line block ×6, first 2 shown]
	v_mul_f64 v[60:61], v[32:33], s[42:43]
	v_add_f64 v[20:21], v[66:67], v[20:21]
	v_mul_f64 v[66:67], v[32:33], s[18:19]
	v_add_f64 v[12:13], v[58:59], v[12:13]
	v_add_f64 v[26:27], v[150:151], v[46:47]
	;; [unrolled: 1-line block ×4, first 2 shown]
	v_mul_f64 v[54:55], v[32:33], s[22:23]
	v_mul_f64 v[56:57], v[32:33], s[38:39]
	;; [unrolled: 1-line block ×4, first 2 shown]
	v_fma_f64 v[148:149], v[34:35], s[4:5], -v[64:65]
	v_fma_f64 v[64:65], v[34:35], s[4:5], v[64:65]
	v_fma_f64 v[152:153], v[34:35], s[34:35], -v[134:135]
	v_fma_f64 v[134:135], v[34:35], s[34:35], v[134:135]
	v_add_f64 v[2:3], v[28:29], v[2:3]
	v_add_f64 v[30:31], v[160:161], v[30:31]
	v_fma_f64 v[146:147], v[34:35], s[10:11], -v[60:61]
	v_fma_f64 v[60:61], v[34:35], s[10:11], v[60:61]
	v_fma_f64 v[150:151], v[34:35], s[36:37], -v[66:67]
	v_fma_f64 v[66:67], v[34:35], s[36:37], v[66:67]
	;; [unrolled: 2-line block ×6, first 2 shown]
	v_add_f64 v[34:35], v[162:163], v[62:63]
	v_add_f64 v[28:29], v[148:149], v[46:47]
	;; [unrolled: 1-line block ×3, first 2 shown]
	v_mul_f64 v[62:63], v[36:37], s[46:47]
	v_mul_f64 v[64:65], v[36:37], s[20:21]
	v_add_f64 v[24:25], v[134:135], v[24:25]
	v_add_f64 v[30:31], v[152:153], v[30:31]
	;; [unrolled: 1-line block ×5, first 2 shown]
	v_mul_f64 v[52:53], v[36:37], s[14:15]
	v_mul_f64 v[60:61], v[36:37], s[38:39]
	v_add_f64 v[50:51], v[66:67], v[50:51]
	v_add_f64 v[4:5], v[138:139], v[4:5]
	v_add_f64 v[6:7], v[54:55], v[6:7]
	v_mul_f64 v[54:55], v[36:37], s[50:51]
	v_add_f64 v[12:13], v[56:57], v[12:13]
	v_add_f64 v[18:19], v[144:145], v[18:19]
	v_add_f64 v[22:23], v[58:59], v[22:23]
	v_mul_f64 v[56:57], v[36:37], s[44:45]
	v_mul_f64 v[58:59], v[36:37], s[26:27]
	;; [unrolled: 1-line block ×3, first 2 shown]
	v_add_f64 v[14:15], v[142:143], v[14:15]
	v_add_f64 v[2:3], v[32:33], v[2:3]
	v_fma_f64 v[146:147], v[38:39], s[0:1], -v[62:63]
	v_fma_f64 v[62:63], v[38:39], s[0:1], v[62:63]
	v_fma_f64 v[148:149], v[38:39], s[10:11], -v[64:65]
	v_fma_f64 v[64:65], v[38:39], s[10:11], v[64:65]
	v_add_f64 v[34:35], v[154:155], v[34:35]
	v_fma_f64 v[66:67], v[38:39], s[30:31], -v[52:53]
	v_fma_f64 v[52:53], v[38:39], s[30:31], v[52:53]
	v_fma_f64 v[144:145], v[38:39], s[28:29], -v[60:61]
	v_fma_f64 v[60:61], v[38:39], s[28:29], v[60:61]
	;; [unrolled: 2-line block ×6, first 2 shown]
	v_add_f64 v[38:39], v[146:147], v[48:49]
	v_add_f64 v[48:49], v[62:63], v[50:51]
	v_mul_f64 v[50:51], v[40:41], s[48:49]
	v_add_f64 v[24:25], v[64:65], v[24:25]
	v_add_f64 v[30:31], v[148:149], v[30:31]
	;; [unrolled: 1-line block ×4, first 2 shown]
	v_mul_f64 v[52:53], v[40:41], s[20:21]
	v_add_f64 v[32:33], v[60:61], v[46:47]
	v_mul_f64 v[46:47], v[40:41], s[16:17]
	v_mul_f64 v[60:61], v[40:41], s[38:39]
	v_add_f64 v[14:15], v[138:139], v[14:15]
	v_add_f64 v[12:13], v[54:55], v[12:13]
	v_mul_f64 v[54:55], v[40:41], s[18:19]
	v_add_f64 v[28:29], v[144:145], v[28:29]
	v_add_f64 v[18:19], v[140:141], v[18:19]
	;; [unrolled: 1-line block ×3, first 2 shown]
	v_mul_f64 v[56:57], v[40:41], s[46:47]
	v_add_f64 v[20:21], v[58:59], v[20:21]
	v_mul_f64 v[58:59], v[40:41], s[24:25]
	v_mul_f64 v[40:41], v[40:41], s[40:41]
	v_add_f64 v[26:27], v[142:143], v[26:27]
	v_add_f64 v[2:3], v[36:37], v[2:3]
	v_fma_f64 v[66:67], v[42:43], s[30:31], -v[50:51]
	v_fma_f64 v[50:51], v[42:43], s[30:31], v[50:51]
	v_mul_f64 v[36:37], v[44:45], s[18:19]
	v_add_f64 v[34:35], v[150:151], v[34:35]
	v_fma_f64 v[134:135], v[42:43], s[10:11], -v[52:53]
	v_fma_f64 v[52:53], v[42:43], s[10:11], v[52:53]
	v_fma_f64 v[62:63], v[42:43], s[34:35], -v[46:47]
	v_fma_f64 v[46:47], v[42:43], s[34:35], v[46:47]
	;; [unrolled: 2-line block ×7, first 2 shown]
	v_mul_f64 v[42:43], v[44:45], s[40:41]
	v_add_f64 v[12:13], v[50:51], v[12:13]
	v_mul_f64 v[50:51], v[44:45], s[52:53]
	v_add_f64 v[14:15], v[66:67], v[14:15]
	v_add_f64 v[18:19], v[134:135], v[18:19]
	v_add_f64 v[22:23], v[52:53], v[22:23]
	v_mul_f64 v[52:53], v[44:45], s[20:21]
	v_add_f64 v[6:7], v[46:47], v[6:7]
	v_mul_f64 v[46:47], v[44:45], s[22:23]
	v_add_f64 v[4:5], v[62:63], v[4:5]
	v_add_f64 v[24:25], v[60:61], v[24:25]
	;; [unrolled: 1-line block ×3, first 2 shown]
	v_mul_f64 v[54:55], v[44:45], s[38:39]
	v_add_f64 v[26:27], v[138:139], v[26:27]
	v_add_f64 v[28:29], v[140:141], v[28:29]
	;; [unrolled: 1-line block ×3, first 2 shown]
	v_mul_f64 v[56:57], v[44:45], s[44:45]
	v_add_f64 v[48:49], v[58:59], v[48:49]
	v_mul_f64 v[44:45], v[44:45], s[14:15]
	v_add_f64 v[2:3], v[40:41], v[2:3]
	v_fma_f64 v[40:41], v[0:1], s[36:37], -v[36:37]
	v_fma_f64 v[36:37], v[0:1], s[36:37], v[36:37]
	v_fma_f64 v[58:59], v[0:1], s[4:5], -v[42:43]
	v_fma_f64 v[42:43], v[0:1], s[4:5], v[42:43]
	v_fma_f64 v[62:63], v[0:1], s[34:35], -v[50:51]
	v_fma_f64 v[50:51], v[0:1], s[34:35], v[50:51]
	v_add_f64 v[38:39], v[142:143], v[38:39]
	v_add_f64 v[30:31], v[144:145], v[30:31]
	v_fma_f64 v[64:65], v[0:1], s[10:11], -v[52:53]
	v_fma_f64 v[52:53], v[0:1], s[10:11], v[52:53]
	v_fma_f64 v[60:61], v[0:1], s[0:1], -v[46:47]
	v_fma_f64 v[46:47], v[0:1], s[0:1], v[46:47]
	v_add_f64 v[34:35], v[146:147], v[34:35]
	v_fma_f64 v[66:67], v[0:1], s[28:29], -v[54:55]
	v_fma_f64 v[54:55], v[0:1], s[28:29], v[54:55]
	v_fma_f64 v[134:135], v[0:1], s[6:7], -v[56:57]
	v_fma_f64 v[56:57], v[0:1], s[6:7], v[56:57]
	;; [unrolled: 2-line block ×3, first 2 shown]
	v_add_f64 v[4:5], v[40:41], v[4:5]
	v_add_f64 v[6:7], v[36:37], v[6:7]
	v_mul_f64 v[36:37], v[8:9], s[42:43]
	v_add_f64 v[12:13], v[42:43], v[12:13]
	v_mul_f64 v[40:41], v[8:9], s[18:19]
	;; [unrolled: 2-line block ×3, first 2 shown]
	v_mul_f64 v[44:45], v[8:9], s[16:17]
	v_mul_f64 v[50:51], v[8:9], s[14:15]
	v_add_f64 v[32:33], v[52:53], v[32:33]
	v_mul_f64 v[52:53], v[8:9], s[46:47]
	v_add_f64 v[22:23], v[46:47], v[22:23]
	v_mul_f64 v[46:47], v[8:9], s[40:41]
	v_mul_f64 v[8:9], v[8:9], s[38:39]
	v_add_f64 v[38:39], v[66:67], v[38:39]
	v_add_f64 v[14:15], v[58:59], v[14:15]
	;; [unrolled: 1-line block ×10, first 2 shown]
	v_fma_f64 v[2:3], v[10:11], s[10:11], -v[36:37]
	v_fma_f64 v[36:37], v[10:11], s[10:11], v[36:37]
	v_fma_f64 v[54:55], v[10:11], s[36:37], -v[40:41]
	v_fma_f64 v[40:41], v[10:11], s[36:37], v[40:41]
	;; [unrolled: 2-line block ×3, first 2 shown]
	v_fma_f64 v[58:59], v[10:11], s[34:35], -v[44:45]
	v_fma_f64 v[62:63], v[10:11], s[30:31], -v[50:51]
	;; [unrolled: 1-line block ×3, first 2 shown]
	v_fma_f64 v[52:53], v[10:11], s[0:1], v[52:53]
	v_fma_f64 v[60:61], v[10:11], s[4:5], -v[46:47]
	v_fma_f64 v[66:67], v[10:11], s[28:29], -v[8:9]
	v_fma_f64 v[46:47], v[10:11], s[4:5], v[46:47]
	v_fma_f64 v[50:51], v[10:11], s[30:31], v[50:51]
	;; [unrolled: 1-line block ×4, first 2 shown]
	v_add_f64 v[2:3], v[2:3], v[14:15]
	v_add_f64 v[10:11], v[36:37], v[12:13]
	;; [unrolled: 1-line block ×16, first 2 shown]
	v_mad_u32_u24 v8, 0x88, v186, 0
	ds_write2_b64 v8, v[16:17], v[4:5] offset1:1
	ds_write2_b64 v8, v[2:3], v[12:13] offset0:2 offset1:3
	ds_write2_b64 v8, v[14:15], v[20:21] offset0:4 offset1:5
	;; [unrolled: 1-line block ×7, first 2 shown]
	ds_write_b64 v8, v[6:7] offset:128
.LBB0_17:
	s_or_b32 exec_lo, exec_lo, s33
	v_and_b32_e32 v46, 0xff, v196
	v_mov_b32_e32 v52, 5
	s_waitcnt lgkmcnt(0)
	s_barrier
	buffer_gl0_inv
	v_mul_lo_u16 v46, 0xf1, v46
	ds_read2_b64 v[20:23], v187 offset1:51
	ds_read2_b64 v[0:3], v195 offset0:126 offset1:177
	ds_read2_b64 v[60:63], v201 offset0:98 offset1:149
	;; [unrolled: 1-line block ×15, first 2 shown]
	ds_read_b64 v[44:45], v187 offset:13056
	v_add_nc_u32_e32 v205, 0x66, v196
	v_add_nc_u32_e32 v202, 0x99, v196
	;; [unrolled: 1-line block ×3, first 2 shown]
	v_lshrrev_b16 v153, 12, v46
	v_add_nc_u32_e32 v198, 0xff, v196
	v_and_b32_e32 v146, 0xff, v205
	v_add_nc_u32_e32 v197, 0x132, v196
	v_add_nc_u32_e32 v194, 0x165, v196
	v_mul_lo_u16 v46, v153, 17
	v_add_nc_u32_e32 v193, 0x198, v196
	v_add_nc_u32_e32 v191, 0x1cb, v196
	;; [unrolled: 1-line block ×3, first 2 shown]
	s_mov_b32 s0, 0xe8584caa
	v_sub_nc_u16 v154, v196, v46
	s_mov_b32 s1, 0xbfebb67a
	s_mov_b32 s5, 0x3febb67a
	;; [unrolled: 1-line block ×4, first 2 shown]
	v_lshlrev_b32_sdwa v46, v52, v154 dst_sel:DWORD dst_unused:UNUSED_PAD src0_sel:DWORD src1_sel:BYTE_0
	s_mov_b32 s16, 0x8eee2c13
	s_mov_b32 s20, 0x43842ef
	s_mov_b32 s28, 0xbb3a28a1
	s_mov_b32 s36, 0xfd768dbf
	s_clause 0x1
	global_load_dwordx4 v[53:56], v46, s[8:9] offset:16
	global_load_dwordx4 v[48:51], v46, s[8:9]
	s_mov_b32 s7, 0xbfe14ced
	s_mov_b32 s17, 0xbfed1bb4
	;; [unrolled: 1-line block ×25, first 2 shown]
	s_waitcnt vmcnt(0) lgkmcnt(15)
	v_mul_f64 v[46:47], v[2:3], v[50:51]
	v_mul_f64 v[50:51], v[70:71], v[50:51]
	v_fma_f64 v[46:47], v[70:71], v[48:49], v[46:47]
	v_fma_f64 v[2:3], v[2:3], v[48:49], -v[50:51]
	s_waitcnt lgkmcnt(14)
	v_mul_f64 v[48:49], v[60:61], v[55:56]
	v_mul_f64 v[50:51], v[128:129], v[55:56]
	v_mov_b32_e32 v55, 0xf0f1
	v_fma_f64 v[48:49], v[128:129], v[53:54], v[48:49]
	v_fma_f64 v[50:51], v[60:61], v[53:54], -v[50:51]
	v_and_b32_e32 v53, 0xff, v186
	v_mul_lo_u16 v53, 0xf1, v53
	v_lshrrev_b16 v151, 12, v53
	v_mul_lo_u16 v53, v151, 17
	v_sub_nc_u16 v152, v186, v53
	v_lshlrev_b32_sdwa v53, v52, v152 dst_sel:DWORD dst_unused:UNUSED_PAD src0_sel:DWORD src1_sel:BYTE_0
	s_clause 0x1
	global_load_dwordx4 v[64:67], v53, s[8:9] offset:16
	global_load_dwordx4 v[58:61], v53, s[8:9]
	s_waitcnt vmcnt(0) lgkmcnt(13)
	v_mul_f64 v[53:54], v[138:139], v[60:61]
	v_fma_f64 v[56:57], v[124:125], v[58:59], v[53:54]
	v_mul_f64 v[53:54], v[124:125], v[60:61]
	v_fma_f64 v[58:59], v[138:139], v[58:59], -v[53:54]
	v_mul_f64 v[53:54], v[62:63], v[66:67]
	v_fma_f64 v[60:61], v[130:131], v[64:65], v[53:54]
	v_mul_f64 v[53:54], v[130:131], v[66:67]
	v_fma_f64 v[62:63], v[62:63], v[64:65], -v[53:54]
	v_mul_lo_u16 v53, 0xf1, v146
	v_lshrrev_b16 v155, 12, v53
	v_mul_lo_u16 v53, v155, 17
	v_sub_nc_u16 v156, v205, v53
	v_lshlrev_b32_sdwa v53, v52, v156 dst_sel:DWORD dst_unused:UNUSED_PAD src0_sel:DWORD src1_sel:BYTE_0
	s_clause 0x1
	global_load_dwordx4 v[128:131], v53, s[8:9] offset:16
	global_load_dwordx4 v[147:150], v53, s[8:9]
	s_waitcnt vmcnt(0)
	v_mul_f64 v[53:54], v[140:141], v[149:150]
	v_fma_f64 v[66:67], v[126:127], v[147:148], v[53:54]
	v_mul_f64 v[53:54], v[126:127], v[149:150]
	v_fma_f64 v[70:71], v[140:141], v[147:148], -v[53:54]
	s_waitcnt lgkmcnt(11)
	v_mul_f64 v[53:54], v[142:143], v[130:131]
	v_fma_f64 v[124:125], v[120:121], v[128:129], v[53:54]
	v_mul_f64 v[53:54], v[120:121], v[130:131]
	v_fma_f64 v[130:131], v[142:143], v[128:129], -v[53:54]
	v_and_b32_e32 v53, 0xff, v202
	v_mul_lo_u16 v53, 0xf1, v53
	v_lshrrev_b16 v147, 12, v53
	v_mul_lo_u16 v53, v147, 17
	v_sub_nc_u16 v148, v202, v53
	v_lshlrev_b32_sdwa v53, v52, v148 dst_sel:DWORD dst_unused:UNUSED_PAD src0_sel:DWORD src1_sel:BYTE_0
	s_clause 0x1
	global_load_dwordx4 v[138:141], v53, s[8:9] offset:16
	global_load_dwordx4 v[126:129], v53, s[8:9]
	s_waitcnt vmcnt(0) lgkmcnt(10)
	v_mul_f64 v[53:54], v[157:158], v[128:129]
	v_fma_f64 v[120:121], v[116:117], v[126:127], v[53:54]
	v_mul_f64 v[53:54], v[116:117], v[128:129]
	v_fma_f64 v[126:127], v[157:158], v[126:127], -v[53:54]
	v_mul_f64 v[53:54], v[144:145], v[140:141]
	v_fma_f64 v[128:129], v[122:123], v[138:139], v[53:54]
	v_mul_f64 v[53:54], v[122:123], v[140:141]
	v_fma_f64 v[134:135], v[144:145], v[138:139], -v[53:54]
	v_and_b32_e32 v53, 0xff, v200
	v_mul_lo_u16 v53, 0xf1, v53
	v_lshrrev_b16 v149, 12, v53
	v_mul_lo_u16 v53, v149, 17
	v_sub_nc_u16 v150, v200, v53
	v_lshlrev_b32_sdwa v53, v52, v150 dst_sel:DWORD dst_unused:UNUSED_PAD src0_sel:DWORD src1_sel:BYTE_0
	s_clause 0x1
	global_load_dwordx4 v[138:141], v53, s[8:9] offset:16
	global_load_dwordx4 v[142:145], v53, s[8:9]
	s_waitcnt vmcnt(0)
	v_mul_f64 v[53:54], v[159:160], v[144:145]
	v_fma_f64 v[116:117], v[118:119], v[142:143], v[53:54]
	v_mul_f64 v[53:54], v[118:119], v[144:145]
	v_fma_f64 v[118:119], v[159:160], v[142:143], -v[53:54]
	s_waitcnt lgkmcnt(8)
	v_mul_f64 v[53:54], v[161:162], v[140:141]
	v_fma_f64 v[122:123], v[112:113], v[138:139], v[53:54]
	v_mul_f64 v[53:54], v[112:113], v[140:141]
	v_fma_f64 v[112:113], v[161:162], v[138:139], -v[53:54]
	v_mul_u32_u24_sdwa v53, v198, v55 dst_sel:DWORD dst_unused:UNUSED_PAD src0_sel:WORD_0 src1_sel:DWORD
	v_lshrrev_b32_e32 v157, 20, v53
	v_mul_lo_u16 v53, v157, 17
	v_sub_nc_u16 v158, v198, v53
	v_lshlrev_b32_sdwa v53, v52, v158 dst_sel:DWORD dst_unused:UNUSED_PAD src0_sel:DWORD src1_sel:WORD_0
	s_clause 0x1
	global_load_dwordx4 v[159:162], v53, s[8:9] offset:16
	global_load_dwordx4 v[142:145], v53, s[8:9]
	s_waitcnt vmcnt(0) lgkmcnt(7)
	v_mul_f64 v[53:54], v[40:41], v[144:145]
	v_fma_f64 v[140:141], v[108:109], v[142:143], v[53:54]
	v_mul_f64 v[53:54], v[108:109], v[144:145]
	v_fma_f64 v[142:143], v[40:41], v[142:143], -v[53:54]
	v_mul_f64 v[40:41], v[163:164], v[161:162]
	v_fma_f64 v[144:145], v[114:115], v[159:160], v[40:41]
	v_mul_f64 v[40:41], v[114:115], v[161:162]
	v_fma_f64 v[114:115], v[163:164], v[159:160], -v[40:41]
	v_mul_u32_u24_sdwa v40, v197, v55 dst_sel:DWORD dst_unused:UNUSED_PAD src0_sel:WORD_0 src1_sel:DWORD
	v_lshrrev_b32_e32 v159, 20, v40
	v_mul_lo_u16 v40, v159, 17
	v_sub_nc_u16 v160, v197, v40
	v_lshlrev_b32_sdwa v40, v52, v160 dst_sel:DWORD dst_unused:UNUSED_PAD src0_sel:DWORD src1_sel:WORD_0
	s_clause 0x1
	global_load_dwordx4 v[161:164], v40, s[8:9] offset:16
	global_load_dwordx4 v[165:168], v40, s[8:9]
	s_waitcnt vmcnt(0)
	v_mul_f64 v[40:41], v[42:43], v[167:168]
	v_fma_f64 v[169:170], v[110:111], v[165:166], v[40:41]
	v_mul_f64 v[40:41], v[110:111], v[167:168]
	v_fma_f64 v[171:172], v[42:43], v[165:166], -v[40:41]
	s_waitcnt lgkmcnt(5)
	v_mul_f64 v[40:41], v[36:37], v[163:164]
	v_fma_f64 v[173:174], v[104:105], v[161:162], v[40:41]
	v_mul_f64 v[40:41], v[104:105], v[163:164]
	v_fma_f64 v[175:176], v[36:37], v[161:162], -v[40:41]
	v_mul_u32_u24_sdwa v36, v194, v55 dst_sel:DWORD dst_unused:UNUSED_PAD src0_sel:WORD_0 src1_sel:DWORD
	v_lshrrev_b32_e32 v162, 20, v36
	v_mul_lo_u16 v36, v162, 17
	v_sub_nc_u16 v161, v194, v36
	v_lshlrev_b32_sdwa v36, v52, v161 dst_sel:DWORD dst_unused:UNUSED_PAD src0_sel:DWORD src1_sel:WORD_0
	s_clause 0x1
	global_load_dwordx4 v[40:43], v36, s[8:9] offset:16
	global_load_dwordx4 v[108:111], v36, s[8:9]
	s_waitcnt vmcnt(0) lgkmcnt(4)
	v_mul_f64 v[36:37], v[32:33], v[110:111]
	v_fma_f64 v[177:178], v[100:101], v[108:109], v[36:37]
	v_mul_f64 v[36:37], v[100:101], v[110:111]
	v_fma_f64 v[179:180], v[32:33], v[108:109], -v[36:37]
	v_mul_f64 v[32:33], v[38:39], v[42:43]
	v_fma_f64 v[181:182], v[106:107], v[40:41], v[32:33]
	v_mul_f64 v[32:33], v[106:107], v[42:43]
	v_fma_f64 v[183:184], v[38:39], v[40:41], -v[32:33]
	v_mul_u32_u24_sdwa v32, v193, v55 dst_sel:DWORD dst_unused:UNUSED_PAD src0_sel:WORD_0 src1_sel:DWORD
	v_lshrrev_b32_e32 v164, 20, v32
	v_mul_lo_u16 v32, v164, 17
	v_sub_nc_u16 v163, v193, v32
	v_lshlrev_b32_sdwa v32, v52, v163 dst_sel:DWORD dst_unused:UNUSED_PAD src0_sel:DWORD src1_sel:WORD_0
	;; [unrolled: 35-line block ×3, first 2 shown]
	s_clause 0x1
	global_load_dwordx4 v[28:31], v24, s[8:9] offset:16
	global_load_dwordx4 v[32:35], v24, s[8:9]
	s_waitcnt vmcnt(0) lgkmcnt(0)
	s_barrier
	buffer_gl0_inv
	v_mul_f64 v[24:25], v[26:27], v[34:35]
	v_fma_f64 v[222:223], v[94:95], v[32:33], v[24:25]
	v_mul_f64 v[24:25], v[94:95], v[34:35]
	v_fma_f64 v[224:225], v[26:27], v[32:33], -v[24:25]
	v_mul_f64 v[24:25], v[44:45], v[30:31]
	v_add_f64 v[26:27], v[2:3], -v[50:51]
	v_fma_f64 v[226:227], v[132:133], v[28:29], v[24:25]
	v_mul_f64 v[24:25], v[132:133], v[30:31]
	v_fma_f64 v[228:229], v[44:45], v[28:29], -v[24:25]
	v_add_f64 v[24:25], v[88:89], v[46:47]
	v_add_f64 v[132:133], v[24:25], v[48:49]
	;; [unrolled: 1-line block ×3, first 2 shown]
	v_fma_f64 v[24:25], v[24:25], -0.5, v[88:89]
	v_fma_f64 v[138:139], v[26:27], s[0:1], v[24:25]
	v_fma_f64 v[106:107], v[26:27], s[4:5], v[24:25]
	v_add_f64 v[24:25], v[20:21], v[2:3]
	v_add_f64 v[2:3], v[2:3], v[50:51]
	;; [unrolled: 1-line block ×3, first 2 shown]
	v_fma_f64 v[2:3], v[2:3], -0.5, v[20:21]
	v_add_f64 v[20:21], v[46:47], -v[48:49]
	v_fma_f64 v[52:53], v[20:21], s[4:5], v[2:3]
	v_fma_f64 v[42:43], v[20:21], s[0:1], v[2:3]
	v_add_f64 v[2:3], v[90:91], v[56:57]
	v_add_f64 v[20:21], v[58:59], -v[62:63]
	v_add_f64 v[100:101], v[2:3], v[60:61]
	v_add_f64 v[2:3], v[56:57], v[60:61]
	v_fma_f64 v[2:3], v[2:3], -0.5, v[90:91]
	v_fma_f64 v[104:105], v[20:21], s[0:1], v[2:3]
	v_fma_f64 v[102:103], v[20:21], s[4:5], v[2:3]
	v_add_f64 v[2:3], v[22:23], v[58:59]
	v_add_f64 v[20:21], v[56:57], -v[60:61]
	v_add_f64 v[54:55], v[2:3], v[62:63]
	v_add_f64 v[2:3], v[58:59], v[62:63]
	v_fma_f64 v[2:3], v[2:3], -0.5, v[22:23]
	;; [unrolled: 7-line block ×3, first 2 shown]
	v_fma_f64 v[98:99], v[20:21], s[0:1], v[2:3]
	v_fma_f64 v[92:93], v[20:21], s[4:5], v[2:3]
	v_add_f64 v[2:3], v[16:17], v[70:71]
	v_add_f64 v[64:65], v[2:3], v[130:131]
	;; [unrolled: 1-line block ×3, first 2 shown]
	v_mov_b32_e32 v130, 3
	v_lshlrev_b32_sdwa v131, v130, v154 dst_sel:DWORD dst_unused:UNUSED_PAD src0_sel:DWORD src1_sel:BYTE_0
	v_fma_f64 v[2:3], v[2:3], -0.5, v[16:17]
	v_add_f64 v[16:17], v[66:67], -v[124:125]
	v_fma_f64 v[70:71], v[16:17], s[4:5], v[2:3]
	v_fma_f64 v[66:67], v[16:17], s[0:1], v[2:3]
	v_add_f64 v[2:3], v[86:87], v[120:121]
	v_add_f64 v[16:17], v[126:127], -v[134:135]
	v_add_f64 v[84:85], v[2:3], v[128:129]
	v_add_f64 v[2:3], v[120:121], v[128:129]
	v_fma_f64 v[2:3], v[2:3], -0.5, v[86:87]
	v_fma_f64 v[94:95], v[16:17], s[0:1], v[2:3]
	v_fma_f64 v[86:87], v[16:17], s[4:5], v[2:3]
	v_add_f64 v[2:3], v[18:19], v[126:127]
	v_add_f64 v[16:17], v[120:121], -v[128:129]
	v_add_f64 v[88:89], v[2:3], v[134:135]
	v_add_f64 v[2:3], v[126:127], v[134:135]
	;; [unrolled: 1-line block ×3, first 2 shown]
	v_fma_f64 v[2:3], v[2:3], -0.5, v[18:19]
	v_fma_f64 v[108:109], v[16:17], s[4:5], v[2:3]
	v_fma_f64 v[90:91], v[16:17], s[0:1], v[2:3]
	v_add_f64 v[2:3], v[76:77], v[116:117]
	v_add_f64 v[16:17], v[118:119], -v[112:113]
	v_add_f64 v[56:57], v[2:3], v[122:123]
	v_add_f64 v[2:3], v[116:117], v[122:123]
	v_fma_f64 v[2:3], v[2:3], -0.5, v[76:77]
	v_fma_f64 v[58:59], v[16:17], s[0:1], v[2:3]
	v_fma_f64 v[50:51], v[16:17], s[4:5], v[2:3]
	v_add_f64 v[2:3], v[12:13], v[118:119]
	v_add_f64 v[16:17], v[142:143], -v[114:115]
	v_add_f64 v[76:77], v[2:3], v[112:113]
	v_add_f64 v[2:3], v[118:119], v[112:113]
	v_fma_f64 v[2:3], v[2:3], -0.5, v[12:13]
	v_add_f64 v[12:13], v[116:117], -v[122:123]
	v_fma_f64 v[110:111], v[12:13], s[4:5], v[2:3]
	v_fma_f64 v[12:13], v[12:13], s[0:1], v[2:3]
	v_add_f64 v[2:3], v[78:79], v[140:141]
	v_add_f64 v[44:45], v[2:3], v[144:145]
	;; [unrolled: 1-line block ×3, first 2 shown]
	v_fma_f64 v[2:3], v[2:3], -0.5, v[78:79]
	v_fma_f64 v[48:49], v[16:17], s[0:1], v[2:3]
	v_fma_f64 v[46:47], v[16:17], s[4:5], v[2:3]
	v_add_f64 v[2:3], v[14:15], v[142:143]
	v_add_f64 v[16:17], v[171:172], -v[175:176]
	v_add_f64 v[78:79], v[2:3], v[114:115]
	v_add_f64 v[2:3], v[142:143], v[114:115]
	v_fma_f64 v[2:3], v[2:3], -0.5, v[14:15]
	v_add_f64 v[14:15], v[140:141], -v[144:145]
	v_fma_f64 v[112:113], v[14:15], s[4:5], v[2:3]
	v_fma_f64 v[14:15], v[14:15], s[0:1], v[2:3]
	v_add_f64 v[2:3], v[80:81], v[169:170]
	v_add_f64 v[36:37], v[2:3], v[173:174]
	;; [unrolled: 1-line block ×3, first 2 shown]
	v_fma_f64 v[2:3], v[2:3], -0.5, v[80:81]
	v_fma_f64 v[38:39], v[16:17], s[0:1], v[2:3]
	v_fma_f64 v[34:35], v[16:17], s[4:5], v[2:3]
	v_add_f64 v[2:3], v[8:9], v[171:172]
	v_add_f64 v[80:81], v[2:3], v[175:176]
	;; [unrolled: 1-line block ×3, first 2 shown]
	v_fma_f64 v[2:3], v[2:3], -0.5, v[8:9]
	v_add_f64 v[8:9], v[169:170], -v[173:174]
	v_fma_f64 v[116:117], v[8:9], s[4:5], v[2:3]
	v_fma_f64 v[114:115], v[8:9], s[0:1], v[2:3]
	v_add_f64 v[2:3], v[82:83], v[177:178]
	v_add_f64 v[8:9], v[179:180], -v[183:184]
	v_add_f64 v[28:29], v[2:3], v[181:182]
	v_add_f64 v[2:3], v[177:178], v[181:182]
	v_fma_f64 v[2:3], v[2:3], -0.5, v[82:83]
	v_fma_f64 v[32:33], v[8:9], s[0:1], v[2:3]
	v_fma_f64 v[30:31], v[8:9], s[4:5], v[2:3]
	v_add_f64 v[2:3], v[10:11], v[179:180]
	v_add_f64 v[8:9], v[177:178], -v[181:182]
	v_add_f64 v[82:83], v[2:3], v[183:184]
	v_add_f64 v[2:3], v[179:180], v[183:184]
	v_fma_f64 v[2:3], v[2:3], -0.5, v[10:11]
	;; [unrolled: 7-line block ×4, first 2 shown]
	v_add_f64 v[4:5], v[206:207], -v[210:211]
	v_fma_f64 v[122:123], v[4:5], s[4:5], v[2:3]
	v_fma_f64 v[4:5], v[4:5], s[0:1], v[2:3]
	v_add_f64 v[2:3], v[74:75], v[214:215]
	v_add_f64 v[18:19], v[2:3], v[218:219]
	;; [unrolled: 1-line block ×3, first 2 shown]
	v_fma_f64 v[2:3], v[2:3], -0.5, v[74:75]
	v_fma_f64 v[20:21], v[8:9], s[0:1], v[2:3]
	v_fma_f64 v[16:17], v[8:9], s[4:5], v[2:3]
	v_add_f64 v[2:3], v[6:7], v[216:217]
	v_add_f64 v[74:75], v[2:3], v[220:221]
	;; [unrolled: 1-line block ×3, first 2 shown]
	v_fma_f64 v[2:3], v[2:3], -0.5, v[6:7]
	v_add_f64 v[6:7], v[214:215], -v[218:219]
	v_fma_f64 v[124:125], v[6:7], s[4:5], v[2:3]
	v_fma_f64 v[6:7], v[6:7], s[0:1], v[2:3]
	v_add_f64 v[2:3], v[68:69], v[222:223]
	v_add_f64 v[8:9], v[2:3], v[226:227]
	;; [unrolled: 1-line block ×3, first 2 shown]
	v_fma_f64 v[2:3], v[2:3], -0.5, v[68:69]
	v_add_f64 v[68:69], v[224:225], -v[228:229]
	v_fma_f64 v[10:11], v[68:69], s[0:1], v[2:3]
	v_fma_f64 v[2:3], v[68:69], s[4:5], v[2:3]
	v_add_f64 v[68:69], v[0:1], v[224:225]
	v_fma_f64 v[0:1], v[126:127], -0.5, v[0:1]
	v_add_f64 v[126:127], v[222:223], -v[226:227]
	v_add_f64 v[68:69], v[68:69], v[228:229]
	v_fma_f64 v[128:129], v[126:127], s[4:5], v[0:1]
	v_fma_f64 v[126:127], v[126:127], s[0:1], v[0:1]
	v_mov_b32_e32 v0, 0x198
	v_mul_u32_u24_sdwa v1, v153, v0 dst_sel:DWORD dst_unused:UNUSED_PAD src0_sel:WORD_0 src1_sel:DWORD
	v_add3_u32 v131, 0, v1, v131
	ds_write2_b64 v131, v[132:133], v[138:139] offset1:17
	ds_write_b64 v131, v[106:107] offset:272
	v_mul_u32_u24_sdwa v1, v151, v0 dst_sel:DWORD dst_unused:UNUSED_PAD src0_sel:WORD_0 src1_sel:DWORD
	v_lshlrev_b32_sdwa v106, v130, v152 dst_sel:DWORD dst_unused:UNUSED_PAD src0_sel:DWORD src1_sel:BYTE_0
	v_add3_u32 v132, 0, v1, v106
	ds_write2_b64 v132, v[100:101], v[104:105] offset1:17
	ds_write_b64 v132, v[102:103] offset:272
	v_mul_u32_u24_sdwa v1, v155, v0 dst_sel:DWORD dst_unused:UNUSED_PAD src0_sel:WORD_0 src1_sel:DWORD
	v_lshlrev_b32_sdwa v100, v130, v156 dst_sel:DWORD dst_unused:UNUSED_PAD src0_sel:DWORD src1_sel:BYTE_0
	v_add3_u32 v133, 0, v1, v100
	ds_write2_b64 v133, v[96:97], v[98:99] offset1:17
	ds_write_b64 v133, v[92:93] offset:272
	v_mul_u32_u24_sdwa v1, v147, v0 dst_sel:DWORD dst_unused:UNUSED_PAD src0_sel:WORD_0 src1_sel:DWORD
	v_lshlrev_b32_sdwa v92, v130, v148 dst_sel:DWORD dst_unused:UNUSED_PAD src0_sel:DWORD src1_sel:BYTE_0
	v_mul_u32_u24_sdwa v0, v149, v0 dst_sel:DWORD dst_unused:UNUSED_PAD src0_sel:WORD_0 src1_sel:DWORD
	v_add3_u32 v134, 0, v1, v92
	v_lshlrev_b32_sdwa v1, v130, v150 dst_sel:DWORD dst_unused:UNUSED_PAD src0_sel:DWORD src1_sel:BYTE_0
	ds_write2_b64 v134, v[84:85], v[94:95] offset1:17
	ds_write_b64 v134, v[86:87] offset:272
	v_add3_u32 v135, 0, v0, v1
	v_mul_u32_u24_e32 v0, 0x198, v157
	v_lshlrev_b32_sdwa v1, v130, v158 dst_sel:DWORD dst_unused:UNUSED_PAD src0_sel:DWORD src1_sel:WORD_0
	ds_write2_b64 v135, v[56:57], v[58:59] offset1:17
	ds_write_b64 v135, v[50:51] offset:272
	v_add3_u32 v138, 0, v0, v1
	v_mul_u32_u24_e32 v0, 0x198, v159
	v_lshlrev_b32_sdwa v1, v130, v160 dst_sel:DWORD dst_unused:UNUSED_PAD src0_sel:DWORD src1_sel:WORD_0
	ds_write2_b64 v138, v[44:45], v[48:49] offset1:17
	ds_write_b64 v138, v[46:47] offset:272
	v_add3_u32 v139, 0, v0, v1
	v_mul_u32_u24_e32 v0, 0x198, v162
	v_lshlrev_b32_sdwa v1, v130, v161 dst_sel:DWORD dst_unused:UNUSED_PAD src0_sel:DWORD src1_sel:WORD_0
	ds_write2_b64 v139, v[36:37], v[38:39] offset1:17
	ds_write_b64 v139, v[34:35] offset:272
	v_add3_u32 v140, 0, v0, v1
	v_mul_u32_u24_e32 v0, 0x198, v164
	v_lshlrev_b32_sdwa v1, v130, v163 dst_sel:DWORD dst_unused:UNUSED_PAD src0_sel:DWORD src1_sel:WORD_0
	ds_write2_b64 v140, v[28:29], v[32:33] offset1:17
	ds_write_b64 v140, v[30:31] offset:272
	v_add3_u32 v141, 0, v0, v1
	v_mul_u32_u24_e32 v0, 0x198, v165
	v_lshlrev_b32_sdwa v1, v130, v166 dst_sel:DWORD dst_unused:UNUSED_PAD src0_sel:DWORD src1_sel:WORD_0
	ds_write2_b64 v141, v[24:25], v[26:27] offset1:17
	ds_write_b64 v141, v[22:23] offset:272
	v_add3_u32 v142, 0, v0, v1
	v_mul_u32_u24_e32 v0, 0x198, v167
	v_lshlrev_b32_sdwa v1, v130, v168 dst_sel:DWORD dst_unused:UNUSED_PAD src0_sel:DWORD src1_sel:WORD_0
	ds_write2_b64 v142, v[18:19], v[20:21] offset1:17
	ds_write_b64 v142, v[16:17] offset:272
	v_add3_u32 v130, 0, v0, v1
	ds_write2_b64 v130, v[8:9], v[10:11] offset1:17
	ds_write_b64 v130, v[2:3] offset:272
	s_waitcnt lgkmcnt(0)
	s_barrier
	buffer_gl0_inv
	ds_read2_b64 v[8:11], v187 offset1:51
	ds_read2_b64 v[0:3], v187 offset0:102 offset1:153
	ds_read2_b64 v[104:107], v199 offset0:50 offset1:101
	ds_read2_b64 v[48:51], v199 offset0:152 offset1:203
	ds_read2_b64 v[100:103], v192 offset0:100 offset1:151
	ds_read2_b64 v[36:39], v192 offset0:202 offset1:253
	ds_read2_b64 v[96:99], v190 offset0:150 offset1:201
	ds_read2_b64 v[28:31], v189 offset0:124 offset1:175
	ds_read2_b64 v[92:95], v201 offset0:200 offset1:251
	ds_read2_b64 v[20:23], v203 offset0:46 offset1:97
	ds_read2_b64 v[84:87], v204 offset0:122 offset1:173
	ds_read2_b64 v[56:59], v187 offset0:204 offset1:255
	ds_read2_b64 v[44:47], v195 offset0:126 offset1:177
	ds_read2_b64 v[32:35], v190 offset0:48 offset1:99
	ds_read2_b64 v[24:27], v201 offset0:98 offset1:149
	ds_read2_b64 v[16:19], v203 offset0:148 offset1:199
	ds_read_b64 v[158:159], v187 offset:13056
	s_waitcnt lgkmcnt(0)
	s_barrier
	buffer_gl0_inv
	ds_write2_b64 v131, v[40:41], v[52:53] offset1:17
	ds_write_b64 v131, v[42:43] offset:272
	ds_write2_b64 v132, v[54:55], v[62:63] offset1:17
	ds_write_b64 v132, v[60:61] offset:272
	;; [unrolled: 2-line block ×11, first 2 shown]
	v_mul_u32_u24_e32 v128, 10, v196
	s_waitcnt lgkmcnt(0)
	s_barrier
	buffer_gl0_inv
	ds_read2_b64 v[12:15], v187 offset1:51
	ds_read2_b64 v[4:7], v187 offset0:102 offset1:153
	ds_read2_b64 v[124:127], v199 offset0:50 offset1:101
	;; [unrolled: 1-line block ×15, first 2 shown]
	ds_read_b64 v[172:173], v187 offset:13056
	v_lshlrev_b32_e32 v155, 4, v128
	s_clause 0x9
	global_load_dwordx4 v[132:135], v155, s[8:9] offset:592
	global_load_dwordx4 v[138:141], v155, s[8:9] offset:576
	;; [unrolled: 1-line block ×10, first 2 shown]
	s_waitcnt vmcnt(6) lgkmcnt(15)
	v_mul_f64 v[128:129], v[6:7], v[149:150]
	v_fma_f64 v[178:179], v[2:3], v[147:148], v[128:129]
	v_mul_f64 v[2:3], v[2:3], v[149:150]
	v_fma_f64 v[180:181], v[6:7], v[147:148], -v[2:3]
	s_waitcnt lgkmcnt(14)
	v_mul_f64 v[2:3], v[124:125], v[144:145]
	v_fma_f64 v[174:175], v[104:105], v[142:143], v[2:3]
	v_mul_f64 v[2:3], v[104:105], v[144:145]
	v_fma_f64 v[168:169], v[124:125], v[142:143], -v[2:3]
	s_waitcnt lgkmcnt(13)
	;; [unrolled: 5-line block ×3, first 2 shown]
	v_mul_f64 v[2:3], v[120:121], v[134:135]
	v_fma_f64 v[160:161], v[100:101], v[132:133], v[2:3]
	v_mul_f64 v[2:3], v[100:101], v[134:135]
	v_fma_f64 v[130:131], v[120:121], v[132:133], -v[2:3]
	s_waitcnt vmcnt(2) lgkmcnt(11)
	v_mul_f64 v[2:3], v[74:75], v[216:217]
	v_fma_f64 v[120:121], v[38:39], v[214:215], v[2:3]
	v_mul_f64 v[2:3], v[38:39], v[216:217]
	v_fma_f64 v[50:51], v[74:75], v[214:215], -v[2:3]
	s_waitcnt lgkmcnt(10)
	v_mul_f64 v[2:3], v[116:117], v[212:213]
	v_fma_f64 v[128:129], v[96:97], v[210:211], v[2:3]
	v_mul_f64 v[2:3], v[96:97], v[212:213]
	v_fma_f64 v[74:75], v[116:117], v[210:211], -v[2:3]
	s_waitcnt lgkmcnt(9)
	;; [unrolled: 5-line block ×3, first 2 shown]
	v_mul_f64 v[2:3], v[112:113], v[153:154]
	v_fma_f64 v[166:167], v[92:93], v[151:152], v[2:3]
	v_mul_f64 v[2:3], v[92:93], v[153:154]
	v_fma_f64 v[112:113], v[112:113], v[151:152], -v[2:3]
	s_waitcnt vmcnt(0) lgkmcnt(7)
	v_mul_f64 v[2:3], v[54:55], v[224:225]
	v_fma_f64 v[176:177], v[22:23], v[222:223], v[2:3]
	v_mul_f64 v[2:3], v[22:23], v[224:225]
	v_fma_f64 v[170:171], v[54:55], v[222:223], -v[2:3]
	s_waitcnt lgkmcnt(6)
	v_mul_f64 v[2:3], v[108:109], v[220:221]
	v_fma_f64 v[182:183], v[84:85], v[218:219], v[2:3]
	v_mul_f64 v[2:3], v[84:85], v[220:221]
	v_fma_f64 v[184:185], v[108:109], v[218:219], -v[2:3]
	s_waitcnt lgkmcnt(5)
	v_mul_f64 v[2:3], v[88:89], v[149:150]
	v_fma_f64 v[84:85], v[56:57], v[147:148], v[2:3]
	v_mul_f64 v[2:3], v[56:57], v[149:150]
	v_fma_f64 v[92:93], v[88:89], v[147:148], -v[2:3]
	v_mul_f64 v[2:3], v[126:127], v[144:145]
	v_fma_f64 v[100:101], v[106:107], v[142:143], v[2:3]
	v_mul_f64 v[2:3], v[106:107], v[144:145]
	v_fma_f64 v[104:105], v[126:127], v[142:143], -v[2:3]
	s_waitcnt lgkmcnt(4)
	v_mul_f64 v[2:3], v[76:77], v[140:141]
	v_fma_f64 v[82:83], v[44:45], v[138:139], v[2:3]
	v_mul_f64 v[2:3], v[44:45], v[140:141]
	v_fma_f64 v[76:77], v[76:77], v[138:139], -v[2:3]
	v_mul_f64 v[2:3], v[122:123], v[134:135]
	v_fma_f64 v[54:55], v[102:103], v[132:133], v[2:3]
	v_mul_f64 v[2:3], v[102:103], v[134:135]
	v_fma_f64 v[66:67], v[122:123], v[132:133], -v[2:3]
	s_waitcnt lgkmcnt(3)
	v_mul_f64 v[2:3], v[68:69], v[216:217]
	v_fma_f64 v[6:7], v[32:33], v[214:215], v[2:3]
	v_mul_f64 v[2:3], v[32:33], v[216:217]
	v_fma_f64 v[22:23], v[68:69], v[214:215], -v[2:3]
	v_mul_f64 v[2:3], v[118:119], v[212:213]
	v_fma_f64 v[30:31], v[98:99], v[210:211], v[2:3]
	v_mul_f64 v[2:3], v[98:99], v[212:213]
	v_fma_f64 v[38:39], v[118:119], v[210:211], -v[2:3]
	s_waitcnt lgkmcnt(2)
	v_mul_f64 v[2:3], v[60:61], v[208:209]
	v_fma_f64 v[68:69], v[24:25], v[206:207], v[2:3]
	v_mul_f64 v[2:3], v[24:25], v[208:209]
	v_fma_f64 v[60:61], v[60:61], v[206:207], -v[2:3]
	v_mul_f64 v[2:3], v[114:115], v[153:154]
	v_fma_f64 v[102:103], v[94:95], v[151:152], v[2:3]
	v_mul_f64 v[2:3], v[94:95], v[153:154]
	v_fma_f64 v[108:109], v[114:115], v[151:152], -v[2:3]
	s_waitcnt lgkmcnt(1)
	v_mul_f64 v[2:3], v[40:41], v[224:225]
	v_fma_f64 v[122:123], v[16:17], v[222:223], v[2:3]
	v_mul_f64 v[2:3], v[16:17], v[224:225]
	v_fma_f64 v[124:125], v[40:41], v[222:223], -v[2:3]
	v_mul_f64 v[2:3], v[110:111], v[220:221]
	v_add_f64 v[40:41], v[180:181], -v[184:185]
	v_fma_f64 v[126:127], v[86:87], v[218:219], v[2:3]
	v_mul_f64 v[2:3], v[86:87], v[220:221]
	v_fma_f64 v[86:87], v[110:111], v[218:219], -v[2:3]
	v_mul_lo_u16 v2, 0xa1, v146
	v_lshrrev_b16 v2, 13, v2
	v_mul_lo_u16 v2, v2, 51
	v_sub_nc_u16 v2, v205, v2
	v_and_b32_e32 v206, 0xff, v2
	v_mul_u32_u24_e32 v2, 10, v206
	v_lshlrev_b32_e32 v16, 4, v2
	s_clause 0x3
	global_load_dwordx4 v[146:149], v16, s[8:9] offset:592
	global_load_dwordx4 v[150:153], v16, s[8:9] offset:576
	global_load_dwordx4 v[132:135], v16, s[8:9] offset:560
	global_load_dwordx4 v[138:141], v16, s[8:9] offset:544
	s_waitcnt vmcnt(0)
	v_mul_f64 v[2:3], v[90:91], v[140:141]
	v_fma_f64 v[142:143], v[58:59], v[138:139], v[2:3]
	v_mul_f64 v[2:3], v[58:59], v[140:141]
	v_fma_f64 v[144:145], v[90:91], v[138:139], -v[2:3]
	v_mul_f64 v[2:3], v[80:81], v[134:135]
	v_fma_f64 v[138:139], v[48:49], v[132:133], v[2:3]
	v_mul_f64 v[2:3], v[48:49], v[134:135]
	v_fma_f64 v[140:141], v[80:81], v[132:133], -v[2:3]
	;; [unrolled: 4-line block ×3, first 2 shown]
	v_mul_f64 v[2:3], v[72:73], v[148:149]
	v_fma_f64 v[78:79], v[36:37], v[146:147], v[2:3]
	v_mul_f64 v[2:3], v[36:37], v[148:149]
	v_add_f64 v[36:37], v[178:179], -v[182:183]
	v_fma_f64 v[72:73], v[72:73], v[146:147], -v[2:3]
	s_clause 0x3
	global_load_dwordx4 v[44:47], v16, s[8:9] offset:656
	global_load_dwordx4 v[56:59], v16, s[8:9] offset:640
	;; [unrolled: 1-line block ×4, first 2 shown]
	s_waitcnt vmcnt(0)
	v_mul_f64 v[2:3], v[70:71], v[90:91]
	v_fma_f64 v[80:81], v[34:35], v[88:89], v[2:3]
	v_mul_f64 v[2:3], v[34:35], v[90:91]
	v_fma_f64 v[70:71], v[70:71], v[88:89], -v[2:3]
	v_mul_f64 v[2:3], v[64:65], v[148:149]
	v_mul_f64 v[88:89], v[40:41], s[28:29]
	v_fma_f64 v[90:91], v[28:29], v[146:147], v[2:3]
	v_mul_f64 v[2:3], v[28:29], v[148:149]
	v_fma_f64 v[28:29], v[64:65], v[146:147], -v[2:3]
	v_mul_f64 v[2:3], v[62:63], v[58:59]
	v_fma_f64 v[146:147], v[26:27], v[56:57], v[2:3]
	v_mul_f64 v[2:3], v[26:27], v[58:59]
	s_clause 0x1
	global_load_dwordx4 v[24:27], v16, s[8:9] offset:688
	global_load_dwordx4 v[32:35], v16, s[8:9] offset:672
	v_add_f64 v[16:17], v[12:13], v[180:181]
	s_waitcnt vmcnt(0) lgkmcnt(0)
	s_barrier
	buffer_gl0_inv
	v_fma_f64 v[148:149], v[62:63], v[56:57], -v[2:3]
	v_mul_f64 v[2:3], v[52:53], v[46:47]
	v_add_f64 v[16:17], v[16:17], v[168:169]
	v_fma_f64 v[150:151], v[20:21], v[44:45], v[2:3]
	v_add_f64 v[16:17], v[16:17], v[162:163]
	v_mul_f64 v[2:3], v[20:21], v[46:47]
	v_add_f64 v[16:17], v[16:17], v[130:131]
	v_fma_f64 v[152:153], v[52:53], v[44:45], -v[2:3]
	v_mul_f64 v[52:53], v[40:41], s[20:21]
	v_add_f64 v[16:17], v[16:17], v[50:51]
	v_add_f64 v[16:17], v[16:17], v[74:75]
	;; [unrolled: 1-line block ×6, first 2 shown]
	v_mul_f64 v[2:3], v[42:43], v[34:35]
	v_fma_f64 v[154:155], v[18:19], v[32:33], v[2:3]
	v_mul_f64 v[2:3], v[18:19], v[34:35]
	v_add_f64 v[34:35], v[180:181], v[184:185]
	v_fma_f64 v[18:19], v[42:43], v[32:33], -v[2:3]
	v_mul_f64 v[2:3], v[172:173], v[26:27]
	v_add_f64 v[32:33], v[178:179], v[182:183]
	v_mul_f64 v[42:43], v[40:41], s[16:17]
	v_mul_f64 v[46:47], v[34:35], s[18:19]
	;; [unrolled: 1-line block ×4, first 2 shown]
	v_fma_f64 v[156:157], v[158:159], v[24:25], v[2:3]
	v_mul_f64 v[2:3], v[158:159], v[26:27]
	v_mul_f64 v[26:27], v[34:35], s[10:11]
	v_fma_f64 v[44:45], v[32:33], s[18:19], v[42:43]
	v_fma_f64 v[42:43], v[32:33], s[18:19], -v[42:43]
	v_fma_f64 v[56:57], v[32:33], s[24:25], v[52:53]
	v_fma_f64 v[52:53], v[32:33], s[24:25], -v[52:53]
	;; [unrolled: 2-line block ×3, first 2 shown]
	v_mul_f64 v[34:35], v[34:35], s[38:39]
	v_fma_f64 v[48:49], v[36:37], s[22:23], v[46:47]
	v_fma_f64 v[46:47], v[36:37], s[16:17], v[46:47]
	;; [unrolled: 1-line block ×6, first 2 shown]
	v_fma_f64 v[158:159], v[172:173], v[24:25], -v[2:3]
	v_mul_f64 v[24:25], v[40:41], s[6:7]
	v_mul_f64 v[40:41], v[40:41], s[36:37]
	v_add_f64 v[2:3], v[8:9], v[178:179]
	v_fma_f64 v[20:21], v[36:37], s[14:15], v[26:27]
	v_fma_f64 v[26:27], v[36:37], s[6:7], v[26:27]
	v_add_f64 v[44:45], v[8:9], v[44:45]
	v_add_f64 v[42:43], v[8:9], v[42:43]
	v_add_f64 v[56:57], v[8:9], v[56:57]
	v_add_f64 v[52:53], v[8:9], v[52:53]
	v_add_f64 v[94:95], v[8:9], v[94:95]
	v_add_f64 v[88:89], v[8:9], v[88:89]
	v_fma_f64 v[114:115], v[36:37], s[40:41], v[34:35]
	v_add_f64 v[48:49], v[12:13], v[48:49]
	v_add_f64 v[46:47], v[12:13], v[46:47]
	v_add_f64 v[62:63], v[12:13], v[62:63]
	v_add_f64 v[58:59], v[12:13], v[58:59]
	v_add_f64 v[106:107], v[12:13], v[106:107]
	v_add_f64 v[98:99], v[12:13], v[98:99]
	v_fma_f64 v[16:17], v[32:33], s[10:11], v[24:25]
	v_fma_f64 v[24:25], v[32:33], s[10:11], -v[24:25]
	v_fma_f64 v[110:111], v[32:33], s[38:39], v[40:41]
	v_fma_f64 v[32:33], v[32:33], s[38:39], -v[40:41]
	v_add_f64 v[40:41], v[168:169], -v[170:171]
	v_add_f64 v[20:21], v[12:13], v[20:21]
	v_add_f64 v[26:27], v[12:13], v[26:27]
	;; [unrolled: 1-line block ×8, first 2 shown]
	v_fma_f64 v[32:33], v[36:37], s[36:37], v[34:35]
	v_mul_f64 v[118:119], v[40:41], s[16:17]
	v_add_f64 v[34:35], v[168:169], v[170:171]
	v_add_f64 v[36:37], v[174:175], -v[176:177]
	v_add_f64 v[2:3], v[2:3], v[164:165]
	v_add_f64 v[12:13], v[12:13], v[32:33]
	;; [unrolled: 1-line block ×4, first 2 shown]
	v_fma_f64 v[168:169], v[32:33], s[18:19], v[118:119]
	v_fma_f64 v[118:119], v[32:33], s[18:19], -v[118:119]
	v_add_f64 v[2:3], v[2:3], v[120:121]
	v_add_f64 v[16:17], v[168:169], v[16:17]
	v_mul_f64 v[168:169], v[34:35], s[18:19]
	v_add_f64 v[24:25], v[118:119], v[24:25]
	v_add_f64 v[2:3], v[2:3], v[128:129]
	v_fma_f64 v[118:119], v[36:37], s[16:17], v[168:169]
	v_fma_f64 v[170:171], v[36:37], s[22:23], v[168:169]
	v_add_f64 v[2:3], v[2:3], v[116:117]
	v_add_f64 v[26:27], v[118:119], v[26:27]
	v_mul_f64 v[118:119], v[40:41], s[28:29]
	v_add_f64 v[20:21], v[170:171], v[20:21]
	v_add_f64 v[2:3], v[2:3], v[166:167]
	v_fma_f64 v[168:169], v[32:33], s[30:31], v[118:119]
	v_fma_f64 v[118:119], v[32:33], s[30:31], -v[118:119]
	v_add_f64 v[2:3], v[2:3], v[176:177]
	v_add_f64 v[44:45], v[168:169], v[44:45]
	v_mul_f64 v[168:169], v[34:35], s[30:31]
	v_add_f64 v[42:43], v[118:119], v[42:43]
	v_add_f64 v[2:3], v[2:3], v[182:183]
	v_fma_f64 v[118:119], v[36:37], s[28:29], v[168:169]
	v_fma_f64 v[170:171], v[36:37], s[34:35], v[168:169]
	v_add_f64 v[46:47], v[118:119], v[46:47]
	v_mul_f64 v[118:119], v[40:41], s[40:41]
	v_add_f64 v[48:49], v[170:171], v[48:49]
	v_fma_f64 v[168:169], v[32:33], s[38:39], v[118:119]
	v_fma_f64 v[118:119], v[32:33], s[38:39], -v[118:119]
	v_add_f64 v[56:57], v[168:169], v[56:57]
	v_mul_f64 v[168:169], v[34:35], s[38:39]
	v_add_f64 v[52:53], v[118:119], v[52:53]
	v_fma_f64 v[118:119], v[36:37], s[40:41], v[168:169]
	v_fma_f64 v[170:171], v[36:37], s[36:37], v[168:169]
	v_add_f64 v[58:59], v[118:119], v[58:59]
	v_mul_f64 v[118:119], v[40:41], s[26:27]
	v_mul_f64 v[40:41], v[40:41], s[14:15]
	v_add_f64 v[62:63], v[170:171], v[62:63]
	v_fma_f64 v[168:169], v[32:33], s[24:25], v[118:119]
	v_fma_f64 v[118:119], v[32:33], s[24:25], -v[118:119]
	v_add_f64 v[94:95], v[168:169], v[94:95]
	v_mul_f64 v[168:169], v[34:35], s[24:25]
	v_add_f64 v[88:89], v[118:119], v[88:89]
	v_mul_f64 v[34:35], v[34:35], s[10:11]
	v_fma_f64 v[118:119], v[36:37], s[26:27], v[168:169]
	v_fma_f64 v[170:171], v[36:37], s[20:21], v[168:169]
	v_add_f64 v[98:99], v[118:119], v[98:99]
	v_fma_f64 v[118:119], v[32:33], s[10:11], v[40:41]
	v_fma_f64 v[32:33], v[32:33], s[10:11], -v[40:41]
	v_add_f64 v[40:41], v[162:163], -v[112:113]
	v_add_f64 v[106:107], v[170:171], v[106:107]
	v_add_f64 v[110:111], v[118:119], v[110:111]
	;; [unrolled: 1-line block ×3, first 2 shown]
	v_fma_f64 v[32:33], v[36:37], s[14:15], v[34:35]
	v_fma_f64 v[118:119], v[36:37], s[6:7], v[34:35]
	v_add_f64 v[34:35], v[162:163], v[112:113]
	v_mul_f64 v[112:113], v[40:41], s[20:21]
	v_add_f64 v[36:37], v[164:165], -v[166:167]
	v_add_f64 v[12:13], v[32:33], v[12:13]
	v_add_f64 v[32:33], v[164:165], v[166:167]
	v_add_f64 v[114:115], v[118:119], v[114:115]
	v_fma_f64 v[118:119], v[32:33], s[24:25], v[112:113]
	v_fma_f64 v[112:113], v[32:33], s[24:25], -v[112:113]
	v_add_f64 v[16:17], v[118:119], v[16:17]
	v_mul_f64 v[118:119], v[34:35], s[24:25]
	v_add_f64 v[24:25], v[112:113], v[24:25]
	v_fma_f64 v[112:113], v[36:37], s[20:21], v[118:119]
	v_fma_f64 v[162:163], v[36:37], s[26:27], v[118:119]
	v_add_f64 v[26:27], v[112:113], v[26:27]
	v_mul_f64 v[112:113], v[40:41], s[40:41]
	v_add_f64 v[20:21], v[162:163], v[20:21]
	v_fma_f64 v[118:119], v[32:33], s[38:39], v[112:113]
	v_fma_f64 v[112:113], v[32:33], s[38:39], -v[112:113]
	v_add_f64 v[44:45], v[118:119], v[44:45]
	v_mul_f64 v[118:119], v[34:35], s[38:39]
	v_add_f64 v[42:43], v[112:113], v[42:43]
	v_fma_f64 v[112:113], v[36:37], s[40:41], v[118:119]
	v_fma_f64 v[162:163], v[36:37], s[36:37], v[118:119]
	v_add_f64 v[46:47], v[112:113], v[46:47]
	v_mul_f64 v[112:113], v[40:41], s[22:23]
	v_add_f64 v[48:49], v[162:163], v[48:49]
	v_fma_f64 v[118:119], v[32:33], s[18:19], v[112:113]
	v_fma_f64 v[112:113], v[32:33], s[18:19], -v[112:113]
	v_add_f64 v[56:57], v[118:119], v[56:57]
	v_mul_f64 v[118:119], v[34:35], s[18:19]
	v_add_f64 v[52:53], v[112:113], v[52:53]
	v_fma_f64 v[112:113], v[36:37], s[22:23], v[118:119]
	v_fma_f64 v[162:163], v[36:37], s[16:17], v[118:119]
	v_add_f64 v[58:59], v[112:113], v[58:59]
	v_mul_f64 v[112:113], v[40:41], s[6:7]
	v_mul_f64 v[40:41], v[40:41], s[28:29]
	v_add_f64 v[62:63], v[162:163], v[62:63]
	v_fma_f64 v[118:119], v[32:33], s[10:11], v[112:113]
	v_fma_f64 v[112:113], v[32:33], s[10:11], -v[112:113]
	v_add_f64 v[94:95], v[118:119], v[94:95]
	v_mul_f64 v[118:119], v[34:35], s[10:11]
	v_add_f64 v[88:89], v[112:113], v[88:89]
	v_mul_f64 v[34:35], v[34:35], s[30:31]
	v_fma_f64 v[112:113], v[36:37], s[6:7], v[118:119]
	v_fma_f64 v[162:163], v[36:37], s[14:15], v[118:119]
	v_add_f64 v[98:99], v[112:113], v[98:99]
	v_fma_f64 v[112:113], v[32:33], s[30:31], v[40:41]
	v_fma_f64 v[32:33], v[32:33], s[30:31], -v[40:41]
	v_add_f64 v[40:41], v[130:131], -v[96:97]
	v_add_f64 v[106:107], v[162:163], v[106:107]
	v_add_f64 v[110:111], v[112:113], v[110:111]
	;; [unrolled: 1-line block ×3, first 2 shown]
	v_fma_f64 v[32:33], v[36:37], s[28:29], v[34:35]
	v_fma_f64 v[112:113], v[36:37], s[34:35], v[34:35]
	v_add_f64 v[34:35], v[130:131], v[96:97]
	v_mul_f64 v[96:97], v[40:41], s[28:29]
	v_add_f64 v[36:37], v[160:161], -v[116:117]
	v_add_f64 v[12:13], v[32:33], v[12:13]
	v_add_f64 v[32:33], v[160:161], v[116:117]
	;; [unrolled: 1-line block ×3, first 2 shown]
	v_fma_f64 v[114:115], v[32:33], s[30:31], v[96:97]
	v_fma_f64 v[96:97], v[32:33], s[30:31], -v[96:97]
	v_add_f64 v[16:17], v[114:115], v[16:17]
	v_mul_f64 v[114:115], v[34:35], s[30:31]
	v_add_f64 v[24:25], v[96:97], v[24:25]
	v_fma_f64 v[96:97], v[36:37], s[28:29], v[114:115]
	v_fma_f64 v[116:117], v[36:37], s[34:35], v[114:115]
	v_add_f64 v[26:27], v[96:97], v[26:27]
	v_mul_f64 v[96:97], v[40:41], s[26:27]
	v_add_f64 v[20:21], v[116:117], v[20:21]
	v_fma_f64 v[114:115], v[32:33], s[24:25], v[96:97]
	v_fma_f64 v[96:97], v[32:33], s[24:25], -v[96:97]
	v_add_f64 v[114:115], v[114:115], v[44:45]
	v_mul_f64 v[44:45], v[34:35], s[24:25]
	v_add_f64 v[42:43], v[96:97], v[42:43]
	v_fma_f64 v[116:117], v[36:37], s[20:21], v[44:45]
	v_fma_f64 v[44:45], v[36:37], s[26:27], v[44:45]
	v_add_f64 v[48:49], v[116:117], v[48:49]
	v_add_f64 v[46:47], v[44:45], v[46:47]
	v_mul_f64 v[44:45], v[40:41], s[6:7]
	v_fma_f64 v[96:97], v[32:33], s[10:11], v[44:45]
	v_fma_f64 v[44:45], v[32:33], s[10:11], -v[44:45]
	v_add_f64 v[56:57], v[96:97], v[56:57]
	v_mul_f64 v[96:97], v[34:35], s[10:11]
	v_add_f64 v[52:53], v[44:45], v[52:53]
	v_fma_f64 v[44:45], v[36:37], s[6:7], v[96:97]
	v_fma_f64 v[116:117], v[36:37], s[14:15], v[96:97]
	v_add_f64 v[58:59], v[44:45], v[58:59]
	v_mul_f64 v[44:45], v[40:41], s[36:37]
	v_mul_f64 v[40:41], v[40:41], s[22:23]
	v_add_f64 v[62:63], v[116:117], v[62:63]
	v_fma_f64 v[96:97], v[32:33], s[38:39], v[44:45]
	v_fma_f64 v[44:45], v[32:33], s[38:39], -v[44:45]
	v_add_f64 v[94:95], v[96:97], v[94:95]
	v_mul_f64 v[96:97], v[34:35], s[38:39]
	v_add_f64 v[118:119], v[44:45], v[88:89]
	v_mul_f64 v[34:35], v[34:35], s[18:19]
	v_fma_f64 v[44:45], v[36:37], s[36:37], v[96:97]
	v_fma_f64 v[116:117], v[36:37], s[40:41], v[96:97]
	v_add_f64 v[130:131], v[44:45], v[98:99]
	v_fma_f64 v[44:45], v[32:33], s[18:19], v[40:41]
	v_fma_f64 v[32:33], v[32:33], s[18:19], -v[40:41]
	v_add_f64 v[40:41], v[50:51], v[74:75]
	v_add_f64 v[116:117], v[116:117], v[106:107]
	v_add_f64 v[110:111], v[44:45], v[110:111]
	v_fma_f64 v[44:45], v[36:37], s[16:17], v[34:35]
	v_add_f64 v[8:9], v[32:33], v[8:9]
	v_fma_f64 v[32:33], v[36:37], s[22:23], v[34:35]
	v_add_f64 v[36:37], v[120:121], v[128:129]
	v_add_f64 v[128:129], v[120:121], -v[128:129]
	v_add_f64 v[120:121], v[50:51], -v[74:75]
	v_add_f64 v[160:161], v[44:45], v[112:113]
	v_add_f64 v[32:33], v[32:33], v[12:13]
	v_mul_f64 v[12:13], v[120:121], s[36:37]
	v_fma_f64 v[34:35], v[36:37], s[38:39], v[12:13]
	v_fma_f64 v[12:13], v[36:37], s[38:39], -v[12:13]
	v_add_f64 v[44:45], v[34:35], v[16:17]
	v_mul_f64 v[16:17], v[40:41], s[38:39]
	v_add_f64 v[12:13], v[12:13], v[24:25]
	v_fma_f64 v[34:35], v[128:129], s[40:41], v[16:17]
	v_fma_f64 v[16:17], v[128:129], s[36:37], v[16:17]
	v_add_f64 v[96:97], v[34:35], v[20:21]
	v_add_f64 v[74:75], v[16:17], v[26:27]
	v_mul_f64 v[16:17], v[120:121], s[14:15]
	v_mul_f64 v[26:27], v[40:41], s[30:31]
	v_fma_f64 v[20:21], v[36:37], s[10:11], v[16:17]
	v_fma_f64 v[16:17], v[36:37], s[10:11], -v[16:17]
	v_add_f64 v[50:51], v[20:21], v[114:115]
	v_mul_f64 v[20:21], v[40:41], s[10:11]
	v_add_f64 v[16:17], v[16:17], v[42:43]
	v_fma_f64 v[24:25], v[128:129], s[6:7], v[20:21]
	v_fma_f64 v[20:21], v[128:129], s[14:15], v[20:21]
	v_add_f64 v[106:107], v[24:25], v[48:49]
	v_add_f64 v[88:89], v[20:21], v[46:47]
	v_mul_f64 v[20:21], v[120:121], s[28:29]
	v_fma_f64 v[24:25], v[36:37], s[30:31], v[20:21]
	v_fma_f64 v[20:21], v[36:37], s[30:31], -v[20:21]
	v_add_f64 v[56:57], v[24:25], v[56:57]
	v_fma_f64 v[24:25], v[128:129], s[34:35], v[26:27]
	v_add_f64 v[112:113], v[24:25], v[62:63]
	v_add_f64 v[24:25], v[20:21], v[52:53]
	v_fma_f64 v[20:21], v[128:129], s[28:29], v[26:27]
	v_add_f64 v[98:99], v[20:21], v[58:59]
	v_mul_f64 v[20:21], v[120:121], s[22:23]
	v_fma_f64 v[26:27], v[36:37], s[18:19], v[20:21]
	v_fma_f64 v[20:21], v[36:37], s[18:19], -v[20:21]
	v_add_f64 v[46:47], v[26:27], v[94:95]
	v_mul_f64 v[26:27], v[40:41], s[18:19]
	v_fma_f64 v[34:35], v[128:129], s[16:17], v[26:27]
	v_add_f64 v[116:117], v[34:35], v[116:117]
	v_add_f64 v[34:35], v[20:21], v[118:119]
	v_fma_f64 v[20:21], v[128:129], s[22:23], v[26:27]
	v_add_f64 v[114:115], v[20:21], v[130:131]
	v_mul_f64 v[20:21], v[120:121], s[20:21]
	v_fma_f64 v[26:27], v[36:37], s[24:25], v[20:21]
	v_fma_f64 v[20:21], v[36:37], s[24:25], -v[20:21]
	v_add_f64 v[36:37], v[92:93], -v[86:87]
	v_add_f64 v[48:49], v[26:27], v[110:111]
	v_mul_f64 v[26:27], v[40:41], s[24:25]
	v_mul_f64 v[42:43], v[36:37], s[6:7]
	;; [unrolled: 1-line block ×3, first 2 shown]
	v_fma_f64 v[40:41], v[128:129], s[26:27], v[26:27]
	v_add_f64 v[120:121], v[40:41], v[160:161]
	v_add_f64 v[40:41], v[20:21], v[8:9]
	v_fma_f64 v[8:9], v[128:129], s[20:21], v[26:27]
	v_add_f64 v[20:21], v[14:15], v[92:93]
	v_add_f64 v[26:27], v[84:85], -v[126:127]
	v_add_f64 v[118:119], v[8:9], v[32:33]
	v_add_f64 v[8:9], v[10:11], v[84:85]
	v_add_f64 v[20:21], v[20:21], v[104:105]
	v_add_f64 v[8:9], v[8:9], v[100:101]
	v_add_f64 v[20:21], v[20:21], v[76:77]
	v_add_f64 v[8:9], v[8:9], v[82:83]
	v_add_f64 v[20:21], v[20:21], v[66:67]
	v_add_f64 v[8:9], v[8:9], v[54:55]
	v_add_f64 v[20:21], v[20:21], v[22:23]
	v_add_f64 v[8:9], v[8:9], v[6:7]
	v_add_f64 v[20:21], v[20:21], v[38:39]
	v_add_f64 v[8:9], v[8:9], v[30:31]
	v_add_f64 v[20:21], v[20:21], v[60:61]
	v_add_f64 v[8:9], v[8:9], v[68:69]
	v_add_f64 v[20:21], v[20:21], v[108:109]
	v_add_f64 v[8:9], v[8:9], v[102:103]
	v_add_f64 v[20:21], v[20:21], v[124:125]
	v_add_f64 v[8:9], v[8:9], v[122:123]
	v_add_f64 v[94:95], v[20:21], v[86:87]
	v_add_f64 v[20:21], v[92:93], v[86:87]
	v_add_f64 v[32:33], v[8:9], v[126:127]
	v_add_f64 v[8:9], v[84:85], v[126:127]
	v_mul_f64 v[84:85], v[36:37], s[16:17]
	v_mul_f64 v[126:127], v[36:37], s[20:21]
	;; [unrolled: 1-line block ×8, first 2 shown]
	v_fma_f64 v[52:53], v[8:9], s[10:11], v[42:43]
	v_fma_f64 v[42:43], v[8:9], s[10:11], -v[42:43]
	v_fma_f64 v[86:87], v[8:9], s[18:19], v[84:85]
	v_fma_f64 v[84:85], v[8:9], s[18:19], -v[84:85]
	;; [unrolled: 2-line block ×5, first 2 shown]
	v_fma_f64 v[62:63], v[26:27], s[14:15], v[58:59]
	v_fma_f64 v[58:59], v[26:27], s[6:7], v[58:59]
	;; [unrolled: 1-line block ×9, first 2 shown]
	v_add_f64 v[36:37], v[104:105], -v[124:125]
	v_add_f64 v[52:53], v[10:11], v[52:53]
	v_add_f64 v[42:43], v[10:11], v[42:43]
	;; [unrolled: 1-line block ×10, first 2 shown]
	v_fma_f64 v[10:11], v[26:27], s[36:37], v[20:21]
	v_add_f64 v[62:63], v[14:15], v[62:63]
	v_add_f64 v[58:59], v[14:15], v[58:59]
	;; [unrolled: 1-line block ×9, first 2 shown]
	v_add_f64 v[26:27], v[100:101], -v[122:123]
	v_add_f64 v[20:21], v[104:105], v[124:125]
	v_add_f64 v[10:11], v[14:15], v[10:11]
	;; [unrolled: 1-line block ×3, first 2 shown]
	v_mul_f64 v[100:101], v[36:37], s[16:17]
	v_fma_f64 v[104:105], v[14:15], s[18:19], v[100:101]
	v_fma_f64 v[100:101], v[14:15], s[18:19], -v[100:101]
	v_add_f64 v[52:53], v[104:105], v[52:53]
	v_mul_f64 v[104:105], v[20:21], s[18:19]
	v_add_f64 v[42:43], v[100:101], v[42:43]
	v_fma_f64 v[100:101], v[26:27], s[16:17], v[104:105]
	v_fma_f64 v[122:123], v[26:27], s[22:23], v[104:105]
	v_add_f64 v[58:59], v[100:101], v[58:59]
	v_mul_f64 v[100:101], v[36:37], s[28:29]
	v_add_f64 v[62:63], v[122:123], v[62:63]
	v_fma_f64 v[104:105], v[14:15], s[30:31], v[100:101]
	v_fma_f64 v[100:101], v[14:15], s[30:31], -v[100:101]
	v_add_f64 v[86:87], v[104:105], v[86:87]
	v_mul_f64 v[104:105], v[20:21], s[30:31]
	v_add_f64 v[84:85], v[100:101], v[84:85]
	v_fma_f64 v[100:101], v[26:27], s[28:29], v[104:105]
	v_fma_f64 v[122:123], v[26:27], s[34:35], v[104:105]
	v_add_f64 v[92:93], v[100:101], v[92:93]
	v_mul_f64 v[100:101], v[36:37], s[40:41]
	v_add_f64 v[110:111], v[122:123], v[110:111]
	v_mul_f64 v[122:123], v[20:21], s[38:39]
	v_fma_f64 v[104:105], v[14:15], s[38:39], v[100:101]
	v_fma_f64 v[100:101], v[14:15], s[38:39], -v[100:101]
	v_fma_f64 v[124:125], v[26:27], s[36:37], v[122:123]
	v_fma_f64 v[122:123], v[26:27], s[40:41], v[122:123]
	v_add_f64 v[104:105], v[104:105], v[128:129]
	v_add_f64 v[100:101], v[100:101], v[126:127]
	v_mul_f64 v[126:127], v[36:37], s[26:27]
	v_mul_f64 v[36:37], v[36:37], s[14:15]
	v_add_f64 v[122:123], v[122:123], v[130:131]
	v_mul_f64 v[130:131], v[20:21], s[24:25]
	v_mul_f64 v[20:21], v[20:21], s[10:11]
	v_add_f64 v[124:125], v[124:125], v[160:161]
	v_fma_f64 v[128:129], v[14:15], s[24:25], v[126:127]
	v_fma_f64 v[126:127], v[14:15], s[24:25], -v[126:127]
	v_fma_f64 v[160:161], v[26:27], s[20:21], v[130:131]
	v_fma_f64 v[130:131], v[26:27], s[26:27], v[130:131]
	v_add_f64 v[128:129], v[128:129], v[164:165]
	v_add_f64 v[126:127], v[126:127], v[162:163]
	v_fma_f64 v[162:163], v[14:15], s[10:11], v[36:37]
	v_fma_f64 v[14:15], v[14:15], s[10:11], -v[36:37]
	v_add_f64 v[36:37], v[76:77], -v[108:109]
	v_fma_f64 v[164:165], v[26:27], s[6:7], v[20:21]
	v_add_f64 v[130:131], v[130:131], v[166:167]
	v_add_f64 v[160:161], v[160:161], v[168:169]
	;; [unrolled: 1-line block ×3, first 2 shown]
	v_add_f64 v[22:23], v[22:23], -v[38:39]
	v_add_f64 v[162:163], v[162:163], v[170:171]
	v_add_f64 v[8:9], v[14:15], v[8:9]
	v_fma_f64 v[14:15], v[26:27], s[14:15], v[20:21]
	v_add_f64 v[20:21], v[76:77], v[108:109]
	v_mul_f64 v[76:77], v[36:37], s[20:21]
	v_add_f64 v[26:27], v[82:83], -v[102:103]
	v_add_f64 v[164:165], v[164:165], v[172:173]
	v_mul_f64 v[38:39], v[166:167], s[30:31]
	v_add_f64 v[10:11], v[14:15], v[10:11]
	v_add_f64 v[14:15], v[82:83], v[102:103]
	v_fma_f64 v[82:83], v[14:15], s[24:25], v[76:77]
	v_fma_f64 v[76:77], v[14:15], s[24:25], -v[76:77]
	v_add_f64 v[52:53], v[82:83], v[52:53]
	v_mul_f64 v[82:83], v[20:21], s[24:25]
	v_add_f64 v[42:43], v[76:77], v[42:43]
	v_fma_f64 v[76:77], v[26:27], s[20:21], v[82:83]
	v_fma_f64 v[102:103], v[26:27], s[26:27], v[82:83]
	v_add_f64 v[58:59], v[76:77], v[58:59]
	v_mul_f64 v[76:77], v[36:37], s[40:41]
	v_add_f64 v[62:63], v[102:103], v[62:63]
	v_fma_f64 v[82:83], v[14:15], s[38:39], v[76:77]
	v_fma_f64 v[76:77], v[14:15], s[38:39], -v[76:77]
	v_add_f64 v[82:83], v[82:83], v[86:87]
	v_mul_f64 v[86:87], v[20:21], s[38:39]
	v_add_f64 v[76:77], v[76:77], v[84:85]
	v_fma_f64 v[102:103], v[26:27], s[36:37], v[86:87]
	v_fma_f64 v[84:85], v[26:27], s[40:41], v[86:87]
	v_mul_f64 v[86:87], v[36:37], s[22:23]
	v_add_f64 v[102:103], v[102:103], v[110:111]
	v_add_f64 v[84:85], v[84:85], v[92:93]
	v_fma_f64 v[92:93], v[14:15], s[18:19], v[86:87]
	v_fma_f64 v[86:87], v[14:15], s[18:19], -v[86:87]
	v_add_f64 v[92:93], v[92:93], v[104:105]
	v_mul_f64 v[104:105], v[20:21], s[18:19]
	v_add_f64 v[86:87], v[86:87], v[100:101]
	v_fma_f64 v[108:109], v[26:27], s[16:17], v[104:105]
	v_fma_f64 v[100:101], v[26:27], s[22:23], v[104:105]
	v_mul_f64 v[104:105], v[36:37], s[6:7]
	v_mul_f64 v[36:37], v[36:37], s[28:29]
	v_add_f64 v[108:109], v[108:109], v[124:125]
	v_add_f64 v[100:101], v[100:101], v[122:123]
	v_fma_f64 v[110:111], v[14:15], s[10:11], v[104:105]
	v_fma_f64 v[104:105], v[14:15], s[10:11], -v[104:105]
	v_mul_f64 v[122:123], v[20:21], s[10:11]
	v_mul_f64 v[20:21], v[20:21], s[30:31]
	v_add_f64 v[110:111], v[110:111], v[128:129]
	v_add_f64 v[104:105], v[104:105], v[126:127]
	v_fma_f64 v[126:127], v[14:15], s[30:31], v[36:37]
	v_fma_f64 v[14:15], v[14:15], s[30:31], -v[36:37]
	v_add_f64 v[36:37], v[66:67], -v[60:61]
	v_fma_f64 v[124:125], v[26:27], s[14:15], v[122:123]
	v_fma_f64 v[122:123], v[26:27], s[6:7], v[122:123]
	;; [unrolled: 1-line block ×3, first 2 shown]
	v_add_f64 v[126:127], v[126:127], v[162:163]
	v_add_f64 v[8:9], v[14:15], v[8:9]
	v_fma_f64 v[14:15], v[26:27], s[28:29], v[20:21]
	v_add_f64 v[26:27], v[54:55], -v[68:69]
	v_add_f64 v[20:21], v[66:67], v[60:61]
	v_add_f64 v[122:123], v[122:123], v[130:131]
	;; [unrolled: 1-line block ×6, first 2 shown]
	v_mul_f64 v[54:55], v[36:37], s[28:29]
	v_fma_f64 v[60:61], v[14:15], s[30:31], v[54:55]
	v_fma_f64 v[54:55], v[14:15], s[30:31], -v[54:55]
	v_add_f64 v[52:53], v[60:61], v[52:53]
	v_mul_f64 v[60:61], v[20:21], s[30:31]
	v_add_f64 v[42:43], v[54:55], v[42:43]
	v_fma_f64 v[66:67], v[26:27], s[34:35], v[60:61]
	v_fma_f64 v[54:55], v[26:27], s[28:29], v[60:61]
	v_add_f64 v[66:67], v[66:67], v[62:63]
	v_add_f64 v[54:55], v[54:55], v[58:59]
	v_mul_f64 v[58:59], v[36:37], s[26:27]
	v_mul_f64 v[62:63], v[20:21], s[24:25]
	v_fma_f64 v[60:61], v[14:15], s[24:25], v[58:59]
	v_fma_f64 v[68:69], v[26:27], s[20:21], v[62:63]
	v_fma_f64 v[58:59], v[14:15], s[24:25], -v[58:59]
	v_fma_f64 v[62:63], v[26:27], s[26:27], v[62:63]
	v_add_f64 v[60:61], v[60:61], v[82:83]
	v_add_f64 v[68:69], v[68:69], v[102:103]
	;; [unrolled: 1-line block ×4, first 2 shown]
	v_mul_f64 v[62:63], v[36:37], s[6:7]
	v_fma_f64 v[82:83], v[14:15], s[10:11], v[62:63]
	v_fma_f64 v[62:63], v[14:15], s[10:11], -v[62:63]
	v_add_f64 v[84:85], v[82:83], v[92:93]
	v_mul_f64 v[82:83], v[20:21], s[10:11]
	v_add_f64 v[102:103], v[62:63], v[86:87]
	v_fma_f64 v[62:63], v[26:27], s[6:7], v[82:83]
	v_fma_f64 v[92:93], v[26:27], s[14:15], v[82:83]
	v_add_f64 v[100:101], v[62:63], v[100:101]
	v_mul_f64 v[62:63], v[36:37], s[36:37]
	v_add_f64 v[92:93], v[92:93], v[108:109]
	v_mul_f64 v[36:37], v[36:37], s[22:23]
	v_fma_f64 v[82:83], v[14:15], s[38:39], v[62:63]
	v_fma_f64 v[62:63], v[14:15], s[38:39], -v[62:63]
	v_add_f64 v[108:109], v[82:83], v[110:111]
	v_mul_f64 v[82:83], v[20:21], s[38:39]
	v_add_f64 v[104:105], v[62:63], v[104:105]
	v_mul_f64 v[20:21], v[20:21], s[18:19]
	v_fma_f64 v[62:63], v[26:27], s[36:37], v[82:83]
	v_fma_f64 v[86:87], v[26:27], s[40:41], v[82:83]
	v_add_f64 v[160:161], v[62:63], v[122:123]
	v_fma_f64 v[62:63], v[14:15], s[18:19], v[36:37]
	v_fma_f64 v[14:15], v[14:15], s[18:19], -v[36:37]
	v_add_f64 v[110:111], v[86:87], v[124:125]
	v_add_f64 v[162:163], v[62:63], v[126:127]
	;; [unrolled: 1-line block ×3, first 2 shown]
	v_fma_f64 v[14:15], v[26:27], s[22:23], v[20:21]
	v_fma_f64 v[62:63], v[26:27], s[16:17], v[20:21]
	v_mul_f64 v[20:21], v[22:23], s[36:37]
	v_add_f64 v[10:11], v[14:15], v[10:11]
	v_add_f64 v[14:15], v[6:7], v[30:31]
	;; [unrolled: 1-line block ×3, first 2 shown]
	v_add_f64 v[6:7], v[6:7], -v[30:31]
	v_fma_f64 v[26:27], v[14:15], s[38:39], v[20:21]
	v_fma_f64 v[20:21], v[14:15], s[38:39], -v[20:21]
	v_add_f64 v[62:63], v[26:27], v[52:53]
	v_mul_f64 v[26:27], v[166:167], s[38:39]
	v_add_f64 v[20:21], v[20:21], v[42:43]
	v_fma_f64 v[30:31], v[6:7], s[40:41], v[26:27]
	v_fma_f64 v[26:27], v[6:7], s[36:37], v[26:27]
	v_add_f64 v[126:127], v[30:31], v[66:67]
	v_add_f64 v[82:83], v[26:27], v[54:55]
	v_mul_f64 v[26:27], v[22:23], s[14:15]
	v_fma_f64 v[30:31], v[14:15], s[10:11], v[26:27]
	v_fma_f64 v[26:27], v[14:15], s[10:11], -v[26:27]
	v_add_f64 v[130:131], v[30:31], v[60:61]
	v_mul_f64 v[30:31], v[166:167], s[10:11]
	v_add_f64 v[26:27], v[26:27], v[58:59]
	v_fma_f64 v[36:37], v[6:7], s[6:7], v[30:31]
	v_fma_f64 v[30:31], v[6:7], s[14:15], v[30:31]
	v_add_f64 v[128:129], v[36:37], v[68:69]
	v_add_f64 v[86:87], v[30:31], v[76:77]
	v_mul_f64 v[30:31], v[22:23], s[28:29]
	v_fma_f64 v[36:37], v[14:15], s[30:31], v[30:31]
	v_fma_f64 v[30:31], v[14:15], s[30:31], -v[30:31]
	v_add_f64 v[58:59], v[36:37], v[84:85]
	v_fma_f64 v[36:37], v[6:7], s[34:35], v[38:39]
	v_add_f64 v[122:123], v[36:37], v[92:93]
	v_add_f64 v[36:37], v[30:31], v[102:103]
	v_fma_f64 v[30:31], v[6:7], s[28:29], v[38:39]
	v_add_f64 v[100:101], v[30:31], v[100:101]
	v_mul_f64 v[30:31], v[22:23], s[22:23]
	v_mul_f64 v[22:23], v[22:23], s[20:21]
	v_fma_f64 v[38:39], v[14:15], s[18:19], v[30:31]
	v_fma_f64 v[30:31], v[14:15], s[18:19], -v[30:31]
	v_add_f64 v[60:61], v[38:39], v[108:109]
	v_mul_f64 v[38:39], v[166:167], s[18:19]
	v_fma_f64 v[42:43], v[6:7], s[16:17], v[38:39]
	v_add_f64 v[124:125], v[42:43], v[110:111]
	v_add_f64 v[42:43], v[30:31], v[104:105]
	v_fma_f64 v[30:31], v[6:7], s[22:23], v[38:39]
	v_add_f64 v[102:103], v[30:31], v[160:161]
	v_fma_f64 v[30:31], v[14:15], s[24:25], v[22:23]
	v_fma_f64 v[14:15], v[14:15], s[24:25], -v[22:23]
	v_add_f64 v[22:23], v[144:145], -v[158:159]
	v_add_f64 v[52:53], v[30:31], v[162:163]
	v_mul_f64 v[30:31], v[166:167], s[24:25]
	v_add_f64 v[54:55], v[14:15], v[8:9]
	v_add_f64 v[8:9], v[4:5], v[144:145]
	v_mul_f64 v[84:85], v[22:23], s[16:17]
	v_mul_f64 v[162:163], v[22:23], s[28:29]
	v_add_f64 v[14:15], v[142:143], -v[156:157]
	ds_write2_b64 v187, v[2:3], v[44:45] offset1:51
	ds_write2_b64 v187, v[50:51], v[56:57] offset0:102 offset1:153
	ds_write2_b64 v187, v[46:47], v[48:49] offset0:204 offset1:255
	;; [unrolled: 1-line block ×10, first 2 shown]
	v_fma_f64 v[38:39], v[6:7], s[26:27], v[30:31]
	v_fma_f64 v[6:7], v[6:7], s[20:21], v[30:31]
	v_add_f64 v[8:9], v[8:9], v[140:141]
	v_mul_f64 v[30:31], v[22:23], s[6:7]
	v_add_f64 v[108:109], v[38:39], v[164:165]
	v_add_f64 v[110:111], v[6:7], v[10:11]
	;; [unrolled: 1-line block ×5, first 2 shown]
	v_mul_f64 v[144:145], v[22:23], s[20:21]
	v_mul_f64 v[22:23], v[22:23], s[36:37]
	v_add_f64 v[6:7], v[6:7], v[138:139]
	v_add_f64 v[8:9], v[8:9], v[72:73]
	v_mul_f64 v[68:69], v[10:11], s[10:11]
	v_mul_f64 v[104:105], v[10:11], s[18:19]
	;; [unrolled: 1-line block ×3, first 2 shown]
	v_add_f64 v[6:7], v[6:7], v[132:133]
	v_add_f64 v[8:9], v[8:9], v[70:71]
	v_fma_f64 v[76:77], v[14:15], s[14:15], v[68:69]
	v_fma_f64 v[68:69], v[14:15], s[6:7], v[68:69]
	;; [unrolled: 1-line block ×4, first 2 shown]
	v_add_f64 v[6:7], v[6:7], v[78:79]
	v_add_f64 v[8:9], v[8:9], v[28:29]
	;; [unrolled: 1-line block ×15, first 2 shown]
	v_mul_f64 v[158:159], v[10:11], s[24:25]
	v_mul_f64 v[10:11], v[10:11], s[38:39]
	v_fma_f64 v[142:143], v[14:15], s[22:23], v[104:105]
	v_fma_f64 v[104:105], v[14:15], s[16:17], v[104:105]
	v_add_f64 v[6:7], v[6:7], v[154:155]
	v_fma_f64 v[38:39], v[8:9], s[10:11], v[30:31]
	v_fma_f64 v[30:31], v[8:9], s[10:11], -v[30:31]
	v_fma_f64 v[92:93], v[8:9], s[18:19], v[84:85]
	v_fma_f64 v[84:85], v[8:9], s[18:19], -v[84:85]
	;; [unrolled: 2-line block ×3, first 2 shown]
	v_fma_f64 v[170:171], v[8:9], s[38:39], v[22:23]
	v_fma_f64 v[160:161], v[14:15], s[26:27], v[158:159]
	v_fma_f64 v[158:159], v[14:15], s[20:21], v[158:159]
	v_fma_f64 v[172:173], v[14:15], s[40:41], v[10:11]
	v_add_f64 v[142:143], v[4:5], v[142:143]
	v_add_f64 v[104:105], v[4:5], v[104:105]
	v_add_f64 v[6:7], v[6:7], v[156:157]
	v_fma_f64 v[156:157], v[8:9], s[24:25], v[144:145]
	v_fma_f64 v[144:145], v[8:9], s[24:25], -v[144:145]
	v_fma_f64 v[8:9], v[8:9], s[38:39], -v[22:23]
	v_add_f64 v[38:39], v[0:1], v[38:39]
	v_add_f64 v[30:31], v[0:1], v[30:31]
	;; [unrolled: 1-line block ×13, first 2 shown]
	v_fma_f64 v[8:9], v[14:15], s[36:37], v[10:11]
	v_add_f64 v[10:11], v[140:141], v[18:19]
	v_add_f64 v[18:19], v[140:141], -v[18:19]
	v_add_f64 v[14:15], v[138:139], -v[154:155]
	v_add_f64 v[4:5], v[4:5], v[8:9]
	v_add_f64 v[8:9], v[138:139], v[154:155]
	v_mul_f64 v[22:23], v[18:19], s[16:17]
	v_fma_f64 v[138:139], v[8:9], s[18:19], v[22:23]
	v_fma_f64 v[22:23], v[8:9], s[18:19], -v[22:23]
	v_add_f64 v[38:39], v[138:139], v[38:39]
	v_mul_f64 v[138:139], v[10:11], s[18:19]
	v_add_f64 v[22:23], v[22:23], v[30:31]
	v_fma_f64 v[30:31], v[14:15], s[16:17], v[138:139]
	v_fma_f64 v[140:141], v[14:15], s[22:23], v[138:139]
	v_add_f64 v[30:31], v[30:31], v[68:69]
	v_mul_f64 v[68:69], v[18:19], s[28:29]
	v_add_f64 v[76:77], v[140:141], v[76:77]
	v_fma_f64 v[138:139], v[8:9], s[30:31], v[68:69]
	v_fma_f64 v[68:69], v[8:9], s[30:31], -v[68:69]
	v_add_f64 v[92:93], v[138:139], v[92:93]
	v_mul_f64 v[138:139], v[10:11], s[30:31]
	v_add_f64 v[68:69], v[68:69], v[84:85]
	v_fma_f64 v[84:85], v[14:15], s[28:29], v[138:139]
	v_fma_f64 v[140:141], v[14:15], s[34:35], v[138:139]
	v_add_f64 v[84:85], v[84:85], v[104:105]
	v_mul_f64 v[104:105], v[18:19], s[40:41]
	v_add_f64 v[140:141], v[140:141], v[142:143]
	v_mul_f64 v[142:143], v[10:11], s[38:39]
	v_fma_f64 v[138:139], v[8:9], s[38:39], v[104:105]
	v_fma_f64 v[104:105], v[8:9], s[38:39], -v[104:105]
	v_fma_f64 v[154:155], v[14:15], s[36:37], v[142:143]
	v_fma_f64 v[142:143], v[14:15], s[40:41], v[142:143]
	v_add_f64 v[138:139], v[138:139], v[156:157]
	v_add_f64 v[104:105], v[104:105], v[144:145]
	v_mul_f64 v[144:145], v[18:19], s[26:27]
	v_mul_f64 v[18:19], v[18:19], s[14:15]
	v_add_f64 v[142:143], v[142:143], v[158:159]
	v_mul_f64 v[158:159], v[10:11], s[24:25]
	v_mul_f64 v[10:11], v[10:11], s[10:11]
	v_add_f64 v[154:155], v[154:155], v[160:161]
	v_fma_f64 v[156:157], v[8:9], s[24:25], v[144:145]
	v_fma_f64 v[144:145], v[8:9], s[24:25], -v[144:145]
	v_fma_f64 v[160:161], v[14:15], s[20:21], v[158:159]
	v_fma_f64 v[158:159], v[14:15], s[26:27], v[158:159]
	v_add_f64 v[156:157], v[156:157], v[164:165]
	v_add_f64 v[144:145], v[144:145], v[162:163]
	v_fma_f64 v[162:163], v[8:9], s[10:11], v[18:19]
	v_fma_f64 v[8:9], v[8:9], s[10:11], -v[18:19]
	v_add_f64 v[18:19], v[134:135], -v[152:153]
	v_fma_f64 v[164:165], v[14:15], s[6:7], v[10:11]
	v_add_f64 v[158:159], v[158:159], v[166:167]
	v_add_f64 v[160:161], v[160:161], v[168:169]
	;; [unrolled: 1-line block ×4, first 2 shown]
	v_fma_f64 v[8:9], v[14:15], s[14:15], v[10:11]
	v_add_f64 v[14:15], v[132:133], -v[150:151]
	v_add_f64 v[10:11], v[134:135], v[152:153]
	v_add_f64 v[164:165], v[164:165], v[172:173]
	;; [unrolled: 1-line block ×4, first 2 shown]
	v_mul_f64 v[132:133], v[18:19], s[20:21]
	v_mul_f64 v[152:153], v[10:11], s[10:11]
	v_fma_f64 v[134:135], v[8:9], s[24:25], v[132:133]
	v_fma_f64 v[132:133], v[8:9], s[24:25], -v[132:133]
	v_add_f64 v[38:39], v[134:135], v[38:39]
	v_mul_f64 v[134:135], v[10:11], s[24:25]
	v_add_f64 v[22:23], v[132:133], v[22:23]
	v_fma_f64 v[132:133], v[14:15], s[20:21], v[134:135]
	v_fma_f64 v[150:151], v[14:15], s[26:27], v[134:135]
	v_add_f64 v[30:31], v[132:133], v[30:31]
	v_mul_f64 v[132:133], v[18:19], s[40:41]
	v_add_f64 v[76:77], v[150:151], v[76:77]
	v_fma_f64 v[134:135], v[8:9], s[38:39], v[132:133]
	v_fma_f64 v[132:133], v[8:9], s[38:39], -v[132:133]
	v_add_f64 v[92:93], v[134:135], v[92:93]
	v_mul_f64 v[134:135], v[10:11], s[38:39]
	v_add_f64 v[68:69], v[132:133], v[68:69]
	v_fma_f64 v[132:133], v[14:15], s[40:41], v[134:135]
	v_fma_f64 v[150:151], v[14:15], s[36:37], v[134:135]
	v_add_f64 v[84:85], v[132:133], v[84:85]
	v_mul_f64 v[132:133], v[18:19], s[22:23]
	v_add_f64 v[140:141], v[150:151], v[140:141]
	v_fma_f64 v[134:135], v[8:9], s[18:19], v[132:133]
	v_fma_f64 v[132:133], v[8:9], s[18:19], -v[132:133]
	v_add_f64 v[134:135], v[134:135], v[138:139]
	v_mul_f64 v[138:139], v[10:11], s[18:19]
	v_add_f64 v[104:105], v[132:133], v[104:105]
	v_mul_f64 v[10:11], v[10:11], s[30:31]
	v_fma_f64 v[150:151], v[14:15], s[16:17], v[138:139]
	v_fma_f64 v[132:133], v[14:15], s[22:23], v[138:139]
	v_mul_f64 v[138:139], v[18:19], s[6:7]
	v_mul_f64 v[18:19], v[18:19], s[28:29]
	v_add_f64 v[150:151], v[150:151], v[154:155]
	v_add_f64 v[132:133], v[132:133], v[142:143]
	v_fma_f64 v[142:143], v[8:9], s[10:11], v[138:139]
	v_fma_f64 v[138:139], v[8:9], s[10:11], -v[138:139]
	v_fma_f64 v[154:155], v[14:15], s[14:15], v[152:153]
	v_add_f64 v[142:143], v[142:143], v[156:157]
	v_add_f64 v[138:139], v[138:139], v[144:145]
	v_fma_f64 v[144:145], v[14:15], s[6:7], v[152:153]
	v_fma_f64 v[152:153], v[8:9], s[30:31], v[18:19]
	v_fma_f64 v[8:9], v[8:9], s[30:31], -v[18:19]
	v_add_f64 v[18:19], v[72:73], -v[148:149]
	v_fma_f64 v[156:157], v[14:15], s[34:35], v[10:11]
	v_add_f64 v[154:155], v[154:155], v[160:161]
	v_add_f64 v[160:161], v[80:81], -v[90:91]
	v_add_f64 v[144:145], v[144:145], v[158:159]
	v_add_f64 v[152:153], v[152:153], v[162:163]
	;; [unrolled: 1-line block ×3, first 2 shown]
	v_fma_f64 v[8:9], v[14:15], s[28:29], v[10:11]
	v_add_f64 v[10:11], v[72:73], v[148:149]
	v_mul_f64 v[72:73], v[18:19], s[28:29]
	v_add_f64 v[14:15], v[78:79], -v[146:147]
	v_add_f64 v[156:157], v[156:157], v[164:165]
	v_add_f64 v[162:163], v[70:71], -v[28:29]
	v_add_f64 v[158:159], v[70:71], v[28:29]
	v_add_f64 v[4:5], v[8:9], v[4:5]
	;; [unrolled: 1-line block ×3, first 2 shown]
	v_fma_f64 v[78:79], v[8:9], s[30:31], v[72:73]
	v_fma_f64 v[72:73], v[8:9], s[30:31], -v[72:73]
	v_add_f64 v[38:39], v[78:79], v[38:39]
	v_mul_f64 v[78:79], v[10:11], s[30:31]
	v_add_f64 v[22:23], v[72:73], v[22:23]
	v_fma_f64 v[72:73], v[14:15], s[28:29], v[78:79]
	v_fma_f64 v[146:147], v[14:15], s[34:35], v[78:79]
	v_add_f64 v[30:31], v[72:73], v[30:31]
	v_mul_f64 v[72:73], v[18:19], s[26:27]
	v_add_f64 v[76:77], v[146:147], v[76:77]
	v_fma_f64 v[78:79], v[8:9], s[24:25], v[72:73]
	v_fma_f64 v[72:73], v[8:9], s[24:25], -v[72:73]
	v_add_f64 v[78:79], v[78:79], v[92:93]
	v_mul_f64 v[92:93], v[10:11], s[24:25]
	v_add_f64 v[72:73], v[72:73], v[68:69]
	v_fma_f64 v[68:69], v[14:15], s[26:27], v[92:93]
	v_fma_f64 v[146:147], v[14:15], s[20:21], v[92:93]
	v_add_f64 v[84:85], v[68:69], v[84:85]
	v_mul_f64 v[68:69], v[18:19], s[6:7]
	v_add_f64 v[140:141], v[146:147], v[140:141]
	v_fma_f64 v[92:93], v[8:9], s[10:11], v[68:69]
	v_fma_f64 v[68:69], v[8:9], s[10:11], -v[68:69]
	v_add_f64 v[92:93], v[92:93], v[134:135]
	v_mul_f64 v[134:135], v[10:11], s[10:11]
	v_add_f64 v[148:149], v[68:69], v[104:105]
	v_fma_f64 v[68:69], v[14:15], s[6:7], v[134:135]
	v_fma_f64 v[146:147], v[14:15], s[14:15], v[134:135]
	v_add_f64 v[132:133], v[68:69], v[132:133]
	v_mul_f64 v[68:69], v[18:19], s[36:37]
	v_mul_f64 v[18:19], v[18:19], s[22:23]
	v_add_f64 v[146:147], v[146:147], v[150:151]
	v_fma_f64 v[104:105], v[8:9], s[38:39], v[68:69]
	v_fma_f64 v[68:69], v[8:9], s[38:39], -v[68:69]
	v_add_f64 v[134:135], v[104:105], v[142:143]
	v_mul_f64 v[104:105], v[10:11], s[38:39]
	v_add_f64 v[138:139], v[68:69], v[138:139]
	v_mul_f64 v[10:11], v[10:11], s[18:19]
	v_fma_f64 v[68:69], v[14:15], s[36:37], v[104:105]
	v_fma_f64 v[142:143], v[14:15], s[40:41], v[104:105]
	v_add_f64 v[144:145], v[68:69], v[144:145]
	v_fma_f64 v[68:69], v[8:9], s[18:19], v[18:19]
	v_fma_f64 v[8:9], v[8:9], s[18:19], -v[18:19]
	v_add_f64 v[142:143], v[142:143], v[154:155]
	v_add_f64 v[150:151], v[68:69], v[152:153]
	v_fma_f64 v[68:69], v[14:15], s[16:17], v[10:11]
	v_add_f64 v[154:155], v[8:9], v[0:1]
	v_fma_f64 v[0:1], v[14:15], s[22:23], v[10:11]
	v_add_f64 v[14:15], v[80:81], v[90:91]
	v_add_f64 v[152:153], v[68:69], v[156:157]
	;; [unrolled: 1-line block ×3, first 2 shown]
	v_mul_f64 v[0:1], v[162:163], s[36:37]
	v_fma_f64 v[4:5], v[14:15], s[38:39], v[0:1]
	v_fma_f64 v[0:1], v[14:15], s[38:39], -v[0:1]
	v_add_f64 v[38:39], v[4:5], v[38:39]
	v_mul_f64 v[4:5], v[158:159], s[38:39]
	v_add_f64 v[0:1], v[0:1], v[22:23]
	v_mul_f64 v[22:23], v[158:159], s[18:19]
	v_fma_f64 v[8:9], v[160:161], s[40:41], v[4:5]
	v_fma_f64 v[4:5], v[160:161], s[36:37], v[4:5]
	v_add_f64 v[104:105], v[8:9], v[76:77]
	v_add_f64 v[68:69], v[4:5], v[30:31]
	v_mul_f64 v[4:5], v[162:163], s[14:15]
	v_fma_f64 v[76:77], v[160:161], s[16:17], v[22:23]
	v_fma_f64 v[22:23], v[160:161], s[22:23], v[22:23]
	;; [unrolled: 1-line block ×3, first 2 shown]
	v_fma_f64 v[4:5], v[14:15], s[10:11], -v[4:5]
	v_add_f64 v[80:81], v[76:77], v[142:143]
	v_add_f64 v[76:77], v[22:23], v[144:145]
	;; [unrolled: 1-line block ×3, first 2 shown]
	v_mul_f64 v[8:9], v[158:159], s[10:11]
	v_add_f64 v[4:5], v[4:5], v[72:73]
	v_mul_f64 v[78:79], v[162:163], s[20:21]
	v_fma_f64 v[10:11], v[160:161], s[6:7], v[8:9]
	v_fma_f64 v[8:9], v[160:161], s[14:15], v[8:9]
	;; [unrolled: 1-line block ×3, first 2 shown]
	v_add_f64 v[90:91], v[10:11], v[140:141]
	v_add_f64 v[70:71], v[8:9], v[84:85]
	v_mul_f64 v[8:9], v[162:163], s[28:29]
	v_add_f64 v[22:23], v[22:23], v[150:151]
	v_fma_f64 v[10:11], v[14:15], s[30:31], v[8:9]
	v_fma_f64 v[8:9], v[14:15], s[30:31], -v[8:9]
	v_add_f64 v[30:31], v[10:11], v[92:93]
	v_mul_f64 v[10:11], v[158:159], s[30:31]
	v_add_f64 v[8:9], v[8:9], v[148:149]
	v_fma_f64 v[18:19], v[160:161], s[34:35], v[10:11]
	v_fma_f64 v[10:11], v[160:161], s[28:29], v[10:11]
	v_add_f64 v[92:93], v[18:19], v[146:147]
	v_add_f64 v[72:73], v[10:11], v[132:133]
	v_mul_f64 v[10:11], v[162:163], s[22:23]
	v_mul_f64 v[132:133], v[158:159], s[24:25]
	v_fma_f64 v[18:19], v[14:15], s[18:19], v[10:11]
	v_fma_f64 v[10:11], v[14:15], s[18:19], -v[10:11]
	v_fma_f64 v[14:15], v[14:15], s[24:25], -v[78:79]
	v_fma_f64 v[84:85], v[160:161], s[26:27], v[132:133]
	v_fma_f64 v[78:79], v[160:161], s[20:21], v[132:133]
	v_lshl_add_u32 v132, v206, 3, 0
	v_add_nc_u32_e32 v133, 0x2000, v132
	ds_write2_b64 v133, v[6:7], v[38:39] offset0:98 offset1:149
	ds_write2_b64 v133, v[28:29], v[30:31] offset0:200 offset1:251
	v_add_f64 v[18:19], v[18:19], v[134:135]
	v_add_f64 v[10:11], v[10:11], v[138:139]
	;; [unrolled: 1-line block ×3, first 2 shown]
	v_add_nc_u32_e32 v134, 0x2800, v132
	v_add_nc_u32_e32 v135, 0x2c00, v132
	ds_write2_b64 v134, v[18:19], v[22:23] offset0:46 offset1:97
	ds_write2_b64 v134, v[14:15], v[10:11] offset0:148 offset1:199
	;; [unrolled: 1-line block ×3, first 2 shown]
	ds_write_b64 v132, v[0:1] offset:13056
	s_waitcnt lgkmcnt(0)
	s_barrier
	buffer_gl0_inv
	ds_read2_b64 v[0:3], v187 offset1:51
	ds_read2_b64 v[16:19], v195 offset0:126 offset1:177
	ds_read2_b64 v[20:23], v201 offset0:98 offset1:149
	;; [unrolled: 1-line block ×15, first 2 shown]
	ds_read_b64 v[130:131], v187 offset:13056
	v_add_f64 v[84:85], v[84:85], v[152:153]
	v_add_f64 v[78:79], v[78:79], v[156:157]
	s_waitcnt lgkmcnt(0)
	s_barrier
	buffer_gl0_inv
	ds_write2_b64 v187, v[64:65], v[96:97] offset1:51
	ds_write2_b64 v187, v[106:107], v[112:113] offset0:102 offset1:153
	ds_write2_b64 v187, v[116:117], v[120:121] offset0:204 offset1:255
	;; [unrolled: 1-line block ×15, first 2 shown]
	ds_write_b64 v132, v[68:69] offset:13056
	s_waitcnt lgkmcnt(0)
	s_barrier
	buffer_gl0_inv
	s_and_saveexec_b32 s6, vcc_lo
	s_cbranch_execz .LBB0_19
; %bb.18:
	v_lshlrev_b32_e32 v112, 1, v188
	v_mov_b32_e32 v113, 0
	v_add_nc_u32_e32 v174, 0xc00, v187
	v_add_nc_u32_e32 v192, 0x800, v187
	;; [unrolled: 1-line block ×4, first 2 shown]
	v_lshlrev_b64 v[64:65], 4, v[112:113]
	v_lshlrev_b32_e32 v112, 1, v191
	v_mad_u64_u32 v[203:204], null, s2, v196, 0
	v_add_nc_u32_e32 v219, 0x462, v196
	v_add_nc_u32_e32 v218, 0x231, v196
	v_add_co_u32 v68, vcc_lo, s8, v64
	v_add_co_ci_u32_e32 v69, vcc_lo, s9, v65, vcc_lo
	v_lshlrev_b64 v[64:65], 4, v[112:113]
	v_add_co_u32 v66, vcc_lo, 0x2200, v68
	v_add_co_ci_u32_e32 v67, vcc_lo, 0, v69, vcc_lo
	v_lshlrev_b32_e32 v112, 1, v193
	v_add_co_u32 v70, vcc_lo, s8, v64
	v_add_co_ci_u32_e32 v71, vcc_lo, s9, v65, vcc_lo
	v_add_co_u32 v64, vcc_lo, 0x2000, v68
	v_add_co_ci_u32_e32 v65, vcc_lo, 0, v69, vcc_lo
	v_add_co_u32 v72, vcc_lo, 0x2000, v70
	v_lshlrev_b64 v[82:83], 4, v[112:113]
	v_add_co_ci_u32_e32 v73, vcc_lo, 0, v71, vcc_lo
	v_add_co_u32 v80, vcc_lo, 0x2200, v70
	v_lshlrev_b32_e32 v112, 1, v194
	v_add_co_ci_u32_e32 v81, vcc_lo, 0, v71, vcc_lo
	v_add_co_u32 v84, vcc_lo, s8, v82
	s_clause 0x3
	global_load_dwordx4 v[76:79], v[64:65], off offset:512
	global_load_dwordx4 v[68:71], v[66:67], off offset:16
	;; [unrolled: 1-line block ×4, first 2 shown]
	v_add_co_ci_u32_e32 v85, vcc_lo, s9, v83, vcc_lo
	v_lshlrev_b64 v[80:81], 4, v[112:113]
	v_add_co_u32 v82, vcc_lo, 0x2200, v84
	v_add_co_ci_u32_e32 v83, vcc_lo, 0, v85, vcc_lo
	v_lshlrev_b32_e32 v112, 1, v197
	v_add_co_u32 v86, vcc_lo, s8, v80
	v_add_co_ci_u32_e32 v87, vcc_lo, s9, v81, vcc_lo
	v_add_co_u32 v80, vcc_lo, 0x2000, v84
	v_add_co_ci_u32_e32 v81, vcc_lo, 0, v85, vcc_lo
	v_add_co_u32 v84, vcc_lo, 0x2000, v86
	v_lshlrev_b64 v[98:99], 4, v[112:113]
	v_add_co_ci_u32_e32 v85, vcc_lo, 0, v87, vcc_lo
	v_add_co_u32 v96, vcc_lo, 0x2200, v86
	v_lshlrev_b32_e32 v112, 1, v198
	v_add_co_ci_u32_e32 v97, vcc_lo, 0, v87, vcc_lo
	v_add_co_u32 v100, vcc_lo, s8, v98
	s_clause 0x3
	global_load_dwordx4 v[88:91], v[80:81], off offset:512
	global_load_dwordx4 v[92:95], v[82:83], off offset:16
	;; [unrolled: 1-line block ×4, first 2 shown]
	v_add_co_ci_u32_e32 v101, vcc_lo, s9, v99, vcc_lo
	v_lshlrev_b64 v[96:97], 4, v[112:113]
	v_add_co_u32 v98, vcc_lo, 0x2200, v100
	v_add_co_ci_u32_e32 v99, vcc_lo, 0, v101, vcc_lo
	v_lshlrev_b32_e32 v112, 1, v200
	v_add_co_u32 v102, vcc_lo, s8, v96
	v_add_co_ci_u32_e32 v103, vcc_lo, s9, v97, vcc_lo
	v_add_co_u32 v96, vcc_lo, 0x2000, v100
	v_add_co_ci_u32_e32 v97, vcc_lo, 0, v101, vcc_lo
	v_add_co_u32 v100, vcc_lo, 0x2000, v102
	v_lshlrev_b64 v[114:115], 4, v[112:113]
	v_add_co_ci_u32_e32 v101, vcc_lo, 0, v103, vcc_lo
	v_add_co_u32 v102, vcc_lo, 0x2200, v102
	v_lshlrev_b32_e32 v112, 1, v202
	v_add_co_ci_u32_e32 v103, vcc_lo, 0, v103, vcc_lo
	v_add_co_u32 v116, vcc_lo, s8, v114
	v_add_co_ci_u32_e32 v117, vcc_lo, s9, v115, vcc_lo
	v_lshlrev_b64 v[114:115], 4, v[112:113]
	v_add_co_u32 v118, vcc_lo, 0x2200, v116
	v_add_co_ci_u32_e32 v119, vcc_lo, 0, v117, vcc_lo
	v_lshlrev_b32_e32 v112, 1, v205
	v_add_co_u32 v120, vcc_lo, s8, v114
	v_add_co_ci_u32_e32 v121, vcc_lo, s9, v115, vcc_lo
	v_add_co_u32 v114, vcc_lo, 0x2000, v116
	v_add_co_ci_u32_e32 v115, vcc_lo, 0, v117, vcc_lo
	v_add_co_u32 v122, vcc_lo, 0x2000, v120
	v_lshlrev_b64 v[132:133], 4, v[112:113]
	v_add_co_ci_u32_e32 v123, vcc_lo, 0, v121, vcc_lo
	v_add_co_u32 v126, vcc_lo, 0x2200, v120
	v_add_co_ci_u32_e32 v127, vcc_lo, 0, v121, vcc_lo
	v_add_co_u32 v134, vcc_lo, s8, v132
	v_add_co_ci_u32_e32 v135, vcc_lo, s9, v133, vcc_lo
	v_lshlrev_b32_e32 v112, 1, v186
	v_add_co_u32 v138, vcc_lo, 0x2200, v134
	v_add_co_ci_u32_e32 v139, vcc_lo, 0, v135, vcc_lo
	v_lshlrev_b64 v[132:133], 4, v[112:113]
	v_add_co_u32 v134, vcc_lo, 0x2000, v134
	v_add_co_ci_u32_e32 v135, vcc_lo, 0, v135, vcc_lo
	s_clause 0x3
	global_load_dwordx4 v[104:107], v[96:97], off offset:512
	global_load_dwordx4 v[108:111], v[98:99], off offset:16
	;; [unrolled: 1-line block ×4, first 2 shown]
	v_add_co_u32 v144, vcc_lo, s8, v132
	s_clause 0x3
	global_load_dwordx4 v[114:117], v[114:115], off offset:512
	global_load_dwordx4 v[118:121], v[118:119], off offset:16
	;; [unrolled: 1-line block ×4, first 2 shown]
	v_add_co_ci_u32_e32 v145, vcc_lo, s9, v133, vcc_lo
	s_clause 0x1
	global_load_dwordx4 v[132:135], v[134:135], off offset:512
	global_load_dwordx4 v[138:141], v[138:139], off offset:16
	v_lshlrev_b32_e32 v112, 1, v196
	v_add_co_u32 v142, vcc_lo, 0x2000, v144
	v_add_co_ci_u32_e32 v143, vcc_lo, 0, v145, vcc_lo
	v_lshlrev_b64 v[112:113], 4, v[112:113]
	v_add_co_u32 v146, vcc_lo, 0x2200, v144
	v_add_co_ci_u32_e32 v147, vcc_lo, 0, v145, vcc_lo
	s_clause 0x1
	global_load_dwordx4 v[142:145], v[142:143], off offset:512
	global_load_dwordx4 v[146:149], v[146:147], off offset:16
	v_add_co_u32 v150, vcc_lo, s8, v112
	v_add_co_ci_u32_e32 v151, vcc_lo, s9, v113, vcc_lo
	v_mad_u64_u32 v[240:241], null, s2, v219, 0
	v_add_co_u32 v112, vcc_lo, 0x2000, v150
	v_add_co_ci_u32_e32 v113, vcc_lo, 0, v151, vcc_lo
	v_add_co_u32 v154, vcc_lo, 0x2200, v150
	v_add_co_ci_u32_e32 v155, vcc_lo, 0, v151, vcc_lo
	s_clause 0x1
	global_load_dwordx4 v[150:153], v[112:113], off offset:512
	global_load_dwordx4 v[154:157], v[154:155], off offset:16
	v_add_nc_u32_e32 v112, 0x1c00, v187
	ds_read_b64 v[189:190], v187 offset:13056
	ds_read2_b64 v[158:161], v187 offset0:204 offset1:255
	ds_read2_b64 v[162:165], v187 offset0:102 offset1:153
	ds_read2_b64 v[166:169], v187 offset1:51
	ds_read2_b64 v[170:173], v112 offset0:124 offset1:175
	ds_read2_b64 v[174:177], v174 offset0:126 offset1:177
	;; [unrolled: 1-line block ×6, first 2 shown]
	v_add_nc_u32_e32 v199, 0x2800, v187
	v_add_nc_u32_e32 v201, 0x1000, v187
	;; [unrolled: 1-line block ×3, first 2 shown]
	v_add_co_u32 v112, vcc_lo, s12, v136
	v_mov_b32_e32 v187, v204
	v_add_co_ci_u32_e32 v113, vcc_lo, s13, v137, vcc_lo
	v_mad_u64_u32 v[136:137], null, s2, v218, 0
	v_mad_u64_u32 v[234:235], null, s3, v196, v[187:188]
	v_mov_b32_e32 v187, v241
	ds_read2_b64 v[214:217], v199 offset0:148 offset1:199
	v_mad_u64_u32 v[238:239], null, s2, v186, 0
	v_add_nc_u32_e32 v251, 0x264, v196
	v_mad_u64_u32 v[235:236], null, s3, v219, v[187:188]
	v_mov_b32_e32 v204, v234
	v_mov_b32_e32 v187, v239
	v_lshlrev_b64 v[203:204], 4, v[203:204]
	v_mov_b32_e32 v241, v235
	v_add_co_u32 v203, vcc_lo, v112, v203
	v_add_co_ci_u32_e32 v204, vcc_lo, v113, v204, vcc_lo
	s_waitcnt vmcnt(21)
	v_mul_f64 v[242:243], v[62:63], v[78:79]
	s_waitcnt lgkmcnt(6)
	v_mul_f64 v[78:79], v[172:173], v[78:79]
	s_waitcnt vmcnt(19)
	v_mul_f64 v[244:245], v[60:61], v[74:75]
	v_mul_f64 v[246:247], v[170:171], v[74:75]
	;; [unrolled: 1-line block ×4, first 2 shown]
	v_fma_f64 v[172:173], v[76:77], v[172:173], -v[242:243]
	v_fma_f64 v[62:63], v[62:63], v[76:77], v[78:79]
	s_waitcnt vmcnt(18)
	v_mul_f64 v[78:79], v[58:59], v[66:67]
	s_waitcnt lgkmcnt(3)
	v_mul_f64 v[66:67], v[184:185], v[66:67]
	v_fma_f64 v[170:171], v[72:73], v[170:171], -v[244:245]
	v_fma_f64 v[60:61], v[60:61], v[72:73], v[246:247]
	v_fma_f64 v[189:190], v[68:69], v[189:190], -v[248:249]
	v_fma_f64 v[68:69], v[130:131], v[68:69], v[70:71]
	s_waitcnt vmcnt(16)
	v_mul_f64 v[242:243], v[56:57], v[94:95]
	v_mul_f64 v[72:73], v[182:183], v[94:95]
	;; [unrolled: 1-line block ×3, first 2 shown]
	s_waitcnt lgkmcnt(2)
	v_mul_f64 v[90:91], v[208:209], v[90:91]
	s_waitcnt vmcnt(15)
	v_mul_f64 v[244:245], v[52:53], v[86:87]
	v_mul_f64 v[70:71], v[206:207], v[86:87]
	s_waitcnt vmcnt(14)
	v_mul_f64 v[86:87], v[50:51], v[82:83]
	s_waitcnt lgkmcnt(0)
	v_mul_f64 v[82:83], v[216:217], v[82:83]
	v_fma_f64 v[78:79], v[64:65], v[184:185], -v[78:79]
	v_fma_f64 v[58:59], v[58:59], v[64:65], v[66:67]
	v_fma_f64 v[130:131], v[92:93], v[182:183], -v[242:243]
	v_fma_f64 v[56:57], v[56:57], v[92:93], v[72:73]
	;; [unrolled: 2-line block ×3, first 2 shown]
	v_fma_f64 v[52:53], v[52:53], v[84:85], v[70:71]
	v_fma_f64 v[86:87], v[80:81], v[216:217], -v[86:87]
	v_fma_f64 v[50:51], v[50:51], v[80:81], v[82:83]
	s_waitcnt vmcnt(13)
	v_mul_f64 v[64:65], v[46:47], v[106:107]
	s_waitcnt vmcnt(12)
	v_mul_f64 v[66:67], v[48:49], v[110:111]
	v_mul_f64 v[110:111], v[214:215], v[110:111]
	s_waitcnt vmcnt(11)
	v_mul_f64 v[72:73], v[44:45], v[98:99]
	s_waitcnt vmcnt(10)
	;; [unrolled: 2-line block ×7, first 2 shown]
	v_mad_u64_u32 v[74:75], null, s3, v218, v[137:138]
	ds_read2_b64 v[218:221], v195 offset0:48 offset1:99
	ds_read2_b64 v[222:225], v199 offset0:46 offset1:97
	;; [unrolled: 1-line block ×5, first 2 shown]
	v_mul_f64 v[82:83], v[32:33], v[140:141]
	v_mov_b32_e32 v137, v74
	ds_read2_b64 v[74:77], v250 offset0:98 offset1:149
	s_waitcnt vmcnt(3)
	v_mul_f64 v[182:183], v[28:29], v[144:145]
	v_lshlrev_b64 v[246:247], 4, v[136:137]
	v_fma_f64 v[136:137], v[84:85], v[206:207], -v[244:245]
	v_mul_f64 v[84:85], v[34:35], v[128:129]
	v_fma_f64 v[66:67], v[108:109], v[214:215], -v[66:67]
	v_fma_f64 v[48:49], v[48:49], v[108:109], v[110:111]
	v_add_f64 v[108:109], v[174:175], v[172:173]
	s_waitcnt lgkmcnt(5)
	v_mul_f64 v[106:107], v[220:221], v[106:107]
	v_mul_f64 v[98:99], v[218:219], v[98:99]
	s_waitcnt lgkmcnt(4)
	v_mul_f64 v[102:103], v[224:225], v[102:103]
	s_waitcnt lgkmcnt(3)
	v_mul_f64 v[116:117], v[228:229], v[116:117]
	v_mul_f64 v[120:121], v[222:223], v[120:121]
	;; [unrolled: 1-line block ×3, first 2 shown]
	s_waitcnt lgkmcnt(2)
	v_mul_f64 v[128:129], v[232:233], v[128:129]
	s_waitcnt lgkmcnt(1)
	v_mul_f64 v[134:135], v[236:237], v[134:135]
	v_mul_f64 v[140:141], v[230:231], v[140:141]
	v_fma_f64 v[64:65], v[104:105], v[220:221], -v[64:65]
	v_add_f64 v[110:111], v[62:63], v[68:69]
	s_waitcnt vmcnt(2)
	v_mul_f64 v[184:185], v[22:23], v[148:149]
	v_fma_f64 v[72:73], v[96:97], v[218:219], -v[72:73]
	v_mul_f64 v[144:145], v[234:235], v[144:145]
	s_waitcnt lgkmcnt(0)
	v_mul_f64 v[148:149], v[76:77], v[148:149]
	v_fma_f64 v[92:93], v[100:101], v[224:225], -v[92:93]
	s_waitcnt vmcnt(1)
	v_mul_f64 v[206:207], v[18:19], v[152:153]
	s_waitcnt vmcnt(0)
	v_mul_f64 v[208:209], v[20:21], v[156:157]
	v_mul_f64 v[152:153], v[176:177], v[152:153]
	;; [unrolled: 1-line block ×3, first 2 shown]
	v_fma_f64 v[90:91], v[118:119], v[222:223], -v[90:91]
	v_fma_f64 v[88:89], v[114:115], v[228:229], -v[88:89]
	v_fma_f64 v[46:47], v[46:47], v[104:105], v[106:107]
	v_add_f64 v[104:105], v[172:173], v[189:190]
	v_add_f64 v[106:107], v[62:63], -v[68:69]
	v_add_f64 v[62:63], v[16:17], v[62:63]
	v_fma_f64 v[44:45], v[44:45], v[96:97], v[98:99]
	v_fma_f64 v[42:43], v[42:43], v[100:101], v[102:103]
	v_add_f64 v[96:97], v[170:171], v[78:79]
	v_add_f64 v[100:101], v[180:181], v[170:171]
	;; [unrolled: 1-line block ×3, first 2 shown]
	v_add_f64 v[98:99], v[60:61], -v[58:59]
	v_add_f64 v[60:61], v[26:27], v[60:61]
	v_fma_f64 v[38:39], v[38:39], v[114:115], v[116:117]
	v_fma_f64 v[114:115], v[40:41], v[118:119], v[120:121]
	v_add_f64 v[40:41], v[94:95], v[130:131]
	v_add_f64 v[116:117], v[54:55], -v[56:57]
	v_add_f64 v[118:119], v[178:179], v[94:95]
	v_add_f64 v[120:121], v[54:55], v[56:57]
	;; [unrolled: 1-line block ×3, first 2 shown]
	v_fma_f64 v[70:71], v[122:123], v[226:227], -v[70:71]
	v_fma_f64 v[84:85], v[126:127], v[232:233], -v[84:85]
	v_fma_f64 v[36:37], v[36:37], v[122:123], v[124:125]
	v_fma_f64 v[122:123], v[34:35], v[126:127], v[128:129]
	v_add_f64 v[126:127], v[212:213], v[136:137]
	v_add_f64 v[128:129], v[52:53], v[50:51]
	v_fma_f64 v[80:81], v[132:133], v[236:237], -v[80:81]
	v_fma_f64 v[82:83], v[138:139], v[230:231], -v[82:83]
	v_fma_f64 v[132:133], v[30:31], v[132:133], v[134:135]
	v_fma_f64 v[134:135], v[32:33], v[138:139], v[140:141]
	v_add_f64 v[138:139], v[64:65], v[66:67]
	v_add_f64 v[214:215], v[210:211], v[64:65]
	v_add_f64 v[218:219], v[64:65], -v[66:67]
	v_fma_f64 v[64:65], v[104:105], -0.5, v[174:175]
	v_add_f64 v[32:33], v[108:109], v[189:190]
	v_add_f64 v[30:31], v[62:63], v[68:69]
	v_fma_f64 v[104:105], v[146:147], v[76:77], -v[184:185]
	v_fma_f64 v[68:69], v[28:29], v[142:143], v[144:145]
	v_fma_f64 v[108:109], v[22:23], v[146:147], v[148:149]
	v_add_f64 v[22:23], v[72:73], v[92:93]
	v_add_f64 v[76:77], v[160:161], v[72:73]
	v_add_f64 v[144:145], v[72:73], -v[92:93]
	v_fma_f64 v[72:73], v[96:97], -0.5, v[180:181]
	v_add_f64 v[28:29], v[100:101], v[78:79]
	v_fma_f64 v[96:97], v[150:151], v[176:177], -v[206:207]
	v_fma_f64 v[100:101], v[154:155], v[74:75], -v[208:209]
	v_fma_f64 v[74:75], v[18:19], v[150:151], v[152:153]
	v_add_f64 v[170:171], v[170:171], -v[78:79]
	v_add_f64 v[34:35], v[136:137], v[86:87]
	v_fma_f64 v[62:63], v[142:143], v[234:235], -v[182:183]
	v_fma_f64 v[78:79], v[102:103], -0.5, v[26:27]
	v_fma_f64 v[102:103], v[20:21], v[154:155], v[156:157]
	v_add_f64 v[172:173], v[172:173], -v[189:190]
	v_add_f64 v[94:95], v[94:95], -v[130:131]
	v_add_f64 v[124:125], v[52:53], -v[50:51]
	v_add_f64 v[136:137], v[136:137], -v[86:87]
	v_add_f64 v[52:53], v[14:15], v[52:53]
	v_add_f64 v[216:217], v[46:47], v[48:49]
	v_fma_f64 v[16:17], v[110:111], -0.5, v[16:17]
	v_add_f64 v[110:111], v[44:45], -v[42:43]
	v_add_f64 v[142:143], v[44:45], v[42:43]
	v_add_f64 v[44:45], v[10:11], v[44:45]
	v_add_f64 v[26:27], v[60:61], v[58:59]
	v_add_f64 v[146:147], v[88:89], v[90:91]
	v_add_f64 v[148:149], v[38:39], -v[114:115]
	v_add_f64 v[150:151], v[158:159], v[88:89]
	v_add_f64 v[152:153], v[38:39], v[114:115]
	v_add_f64 v[154:155], v[88:89], -v[90:91]
	v_add_f64 v[88:89], v[8:9], v[38:39]
	v_fma_f64 v[156:157], v[40:41], -0.5, v[178:179]
	v_add_f64 v[40:41], v[118:119], v[130:131]
	v_fma_f64 v[24:25], v[120:121], -0.5, v[24:25]
	v_add_f64 v[38:39], v[54:55], v[56:57]
	v_add_f64 v[118:119], v[70:71], v[84:85]
	v_add_f64 v[120:121], v[36:37], -v[122:123]
	v_add_f64 v[130:131], v[164:165], v[70:71]
	v_add_f64 v[174:175], v[36:37], v[122:123]
	v_add_f64 v[176:177], v[70:71], -v[84:85]
	v_add_f64 v[70:71], v[6:7], v[36:37]
	v_add_f64 v[56:57], v[126:127], v[86:87]
	v_fma_f64 v[86:87], v[128:129], -0.5, v[14:15]
	v_add_f64 v[60:61], v[214:215], v[66:67]
	v_fma_f64 v[14:15], v[106:107], s[0:1], v[64:65]
	v_fma_f64 v[18:19], v[106:107], s[4:5], v[64:65]
	v_add_f64 v[206:207], v[68:69], v[108:109]
	v_fma_f64 v[160:161], v[22:23], -0.5, v[160:161]
	v_add_f64 v[64:65], v[76:77], v[92:93]
	v_fma_f64 v[22:23], v[98:99], s[0:1], v[72:73]
	v_fma_f64 v[36:37], v[98:99], s[4:5], v[72:73]
	v_add_f64 v[92:93], v[96:97], v[100:101]
	v_add_f64 v[98:99], v[166:167], v[96:97]
	v_add_f64 v[214:215], v[96:97], -v[100:101]
	v_add_f64 v[96:97], v[0:1], v[74:75]
	v_fma_f64 v[178:179], v[34:35], -0.5, v[212:213]
	v_add_f64 v[126:127], v[80:81], v[82:83]
	v_add_f64 v[180:181], v[162:163], v[80:81]
	;; [unrolled: 1-line block ×3, first 2 shown]
	v_add_f64 v[184:185], v[80:81], -v[82:83]
	v_add_f64 v[80:81], v[4:5], v[132:133]
	v_add_f64 v[106:107], v[62:63], v[104:105]
	;; [unrolled: 1-line block ×3, first 2 shown]
	v_add_f64 v[140:141], v[46:47], -v[48:49]
	v_add_f64 v[46:47], v[12:13], v[46:47]
	v_add_f64 v[128:129], v[132:133], -v[134:135]
	v_fma_f64 v[132:133], v[138:139], -0.5, v[210:211]
	v_fma_f64 v[138:139], v[216:217], -0.5, v[12:13]
	v_fma_f64 v[12:13], v[172:173], s[4:5], v[16:17]
	v_fma_f64 v[16:17], v[172:173], s[0:1], v[16:17]
	v_add_f64 v[172:173], v[68:69], -v[108:109]
	v_add_f64 v[189:190], v[168:169], v[62:63]
	v_add_f64 v[208:209], v[62:63], -v[104:105]
	v_add_f64 v[210:211], v[2:3], v[68:69]
	v_add_f64 v[62:63], v[44:45], v[42:43]
	;; [unrolled: 1-line block ×3, first 2 shown]
	v_fma_f64 v[150:151], v[152:153], -0.5, v[8:9]
	v_add_f64 v[66:67], v[88:89], v[114:115]
	v_fma_f64 v[8:9], v[94:95], s[4:5], v[24:25]
	v_fma_f64 v[42:43], v[94:95], s[0:1], v[24:25]
	v_fma_f64 v[24:25], v[118:119], -0.5, v[164:165]
	v_add_f64 v[72:73], v[130:131], v[84:85]
	v_fma_f64 v[130:131], v[206:207], -0.5, v[2:3]
	v_fma_f64 v[88:89], v[110:111], s[0:1], v[160:161]
	v_fma_f64 v[2:3], v[110:111], s[4:5], v[160:161]
	v_fma_f64 v[110:111], v[92:93], -0.5, v[166:167]
	v_add_f64 v[92:93], v[98:99], v[100:101]
	v_add_f64 v[90:91], v[96:97], v[102:103]
	v_fma_f64 v[20:21], v[170:171], s[4:5], v[78:79]
	v_fma_f64 v[34:35], v[170:171], s[0:1], v[78:79]
	v_add_f64 v[170:171], v[74:75], -v[102:103]
	v_fma_f64 v[114:115], v[174:175], -0.5, v[6:7]
	v_add_f64 v[70:71], v[70:71], v[122:123]
	v_fma_f64 v[118:119], v[126:127], -0.5, v[162:163]
	v_fma_f64 v[122:123], v[182:183], -0.5, v[4:5]
	v_add_f64 v[74:75], v[80:81], v[134:135]
	v_fma_f64 v[126:127], v[106:107], -0.5, v[168:169]
	v_fma_f64 v[134:135], v[212:213], -0.5, v[0:1]
	;; [unrolled: 1-line block ×3, first 2 shown]
	v_add_f64 v[76:77], v[180:181], v[82:83]
	v_add_f64 v[84:85], v[189:190], v[104:105]
	;; [unrolled: 1-line block ×3, first 2 shown]
	v_fma_f64 v[104:105], v[120:121], s[0:1], v[24:25]
	v_fma_f64 v[108:109], v[120:121], s[4:5], v[24:25]
	v_mad_u64_u32 v[24:25], null, s3, v186, v[187:188]
	v_add_f64 v[54:55], v[52:53], v[50:51]
	v_add_f64 v[58:59], v[46:47], v[48:49]
	v_fma_f64 v[10:11], v[116:117], s[0:1], v[156:157]
	global_store_dwordx4 v[203:204], v[90:93], off
	v_mad_u64_u32 v[90:91], null, s2, v251, 0
	v_fma_f64 v[44:45], v[116:117], s[4:5], v[156:157]
	v_fma_f64 v[48:49], v[124:125], s[0:1], v[178:179]
	;; [unrolled: 1-line block ×23, first 2 shown]
	v_add_nc_u32_e32 v144, 0x495, v196
	v_mov_b32_e32 v239, v24
	v_mov_b32_e32 v24, v91
	v_fma_f64 v[4:5], v[218:219], s[4:5], v[138:139]
	v_fma_f64 v[78:79], v[218:219], s[0:1], v[138:139]
	v_lshlrev_b64 v[110:111], 4, v[240:241]
	v_mad_u64_u32 v[138:139], null, s2, v144, 0
	v_add_co_u32 v92, vcc_lo, v112, v246
	v_lshlrev_b64 v[140:141], 4, v[238:239]
	v_mad_u64_u32 v[24:25], null, s3, v251, v[24:25]
	v_mad_u64_u32 v[142:143], null, s2, v205, 0
	v_add_co_ci_u32_e32 v93, vcc_lo, v113, v247, vcc_lo
	v_add_co_u32 v110, vcc_lo, v112, v110
	v_add_co_ci_u32_e32 v111, vcc_lo, v113, v111, vcc_lo
	v_mov_b32_e32 v25, v139
	v_add_co_u32 v139, vcc_lo, v112, v140
	v_add_co_ci_u32_e32 v140, vcc_lo, v113, v141, vcc_lo
	v_mov_b32_e32 v91, v24
	v_mov_b32_e32 v24, v143
	v_mad_u64_u32 v[144:145], null, s3, v144, v[25:26]
	global_store_dwordx4 v[92:93], v[134:137], off
	global_store_dwordx4 v[110:111], v[130:133], off
	;; [unrolled: 1-line block ×3, first 2 shown]
	v_add_nc_u32_e32 v130, 0x297, v196
	v_mad_u64_u32 v[24:25], null, s3, v205, v[24:25]
	v_lshlrev_b64 v[82:83], 4, v[90:91]
	v_add_nc_u32_e32 v132, 0x4c8, v196
	v_mad_u64_u32 v[84:85], null, s2, v130, 0
	v_mov_b32_e32 v139, v144
	v_fma_f64 v[146:147], v[146:147], -0.5, v[158:159]
	v_mov_b32_e32 v143, v24
	v_add_co_u32 v82, vcc_lo, v112, v82
	v_lshlrev_b64 v[90:91], 4, v[138:139]
	v_mov_b32_e32 v24, v85
	v_lshlrev_b64 v[110:111], 4, v[142:143]
	v_add_co_ci_u32_e32 v83, vcc_lo, v113, v83, vcc_lo
	v_mad_u64_u32 v[92:93], null, s2, v132, 0
	v_add_co_u32 v90, vcc_lo, v112, v90
	v_mad_u64_u32 v[24:25], null, s3, v130, v[24:25]
	v_mad_u64_u32 v[130:131], null, s2, v202, 0
	v_add_co_ci_u32_e32 v91, vcc_lo, v113, v91, vcc_lo
	v_add_co_u32 v110, vcc_lo, v112, v110
	v_add_co_ci_u32_e32 v111, vcc_lo, v113, v111, vcc_lo
	v_mov_b32_e32 v25, v93
	v_mov_b32_e32 v85, v24
	global_store_dwordx4 v[82:83], v[126:129], off
	global_store_dwordx4 v[90:91], v[122:125], off
	;; [unrolled: 1-line block ×3, first 2 shown]
	v_mov_b32_e32 v24, v131
	v_add_nc_u32_e32 v110, 0x2ca, v196
	v_mad_u64_u32 v[132:133], null, s3, v132, v[25:26]
	v_add_nc_u32_e32 v111, 0x4fb, v196
	v_mad_u64_u32 v[24:25], null, s3, v202, v[24:25]
	v_mad_u64_u32 v[76:77], null, s2, v110, 0
	v_lshlrev_b64 v[74:75], 4, v[84:85]
	v_mov_b32_e32 v93, v132
	v_mad_u64_u32 v[84:85], null, s2, v111, 0
	v_mov_b32_e32 v131, v24
	v_fma_f64 v[100:101], v[148:149], s[4:5], v[146:147]
	v_mov_b32_e32 v24, v77
	v_lshlrev_b64 v[82:83], 4, v[92:93]
	v_mad_u64_u32 v[92:93], null, s2, v200, 0
	v_add_co_u32 v74, vcc_lo, v112, v74
	v_mad_u64_u32 v[24:25], null, s3, v110, v[24:25]
	v_lshlrev_b64 v[90:91], 4, v[130:131]
	v_mov_b32_e32 v25, v85
	v_add_co_ci_u32_e32 v75, vcc_lo, v113, v75, vcc_lo
	v_add_co_u32 v82, vcc_lo, v112, v82
	v_mov_b32_e32 v77, v24
	v_mov_b32_e32 v24, v93
	v_add_co_ci_u32_e32 v83, vcc_lo, v113, v83, vcc_lo
	v_mad_u64_u32 v[110:111], null, s3, v111, v[25:26]
	v_add_co_u32 v90, vcc_lo, v112, v90
	v_add_co_ci_u32_e32 v91, vcc_lo, v113, v91, vcc_lo
	v_mad_u64_u32 v[24:25], null, s3, v200, v[24:25]
	global_store_dwordx4 v[74:75], v[118:121], off
	global_store_dwordx4 v[82:83], v[114:117], off
	;; [unrolled: 1-line block ×3, first 2 shown]
	v_add_nc_u32_e32 v82, 0x2fd, v196
	v_add_nc_u32_e32 v90, 0x52e, v196
	v_mov_b32_e32 v85, v110
	v_lshlrev_b64 v[70:71], 4, v[76:77]
	v_fma_f64 v[98:99], v[154:155], s[0:1], v[150:151]
	v_mad_u64_u32 v[72:73], null, s2, v82, 0
	v_mov_b32_e32 v93, v24
	v_mad_u64_u32 v[74:75], null, s2, v90, 0
	v_lshlrev_b64 v[24:25], 4, v[84:85]
	v_add_co_u32 v70, vcc_lo, v112, v70
	v_lshlrev_b64 v[76:77], 4, v[92:93]
	v_add_co_ci_u32_e32 v71, vcc_lo, v113, v71, vcc_lo
	v_mad_u64_u32 v[82:83], null, s3, v82, v[73:74]
	v_add_co_u32 v24, vcc_lo, v112, v24
	v_add_co_ci_u32_e32 v25, vcc_lo, v113, v25, vcc_lo
	v_add_co_u32 v76, vcc_lo, v112, v76
	v_add_co_ci_u32_e32 v77, vcc_lo, v113, v77, vcc_lo
	v_mov_b32_e32 v73, v82
	v_mad_u64_u32 v[82:83], null, s3, v90, v[75:76]
	global_store_dwordx4 v[70:71], v[106:109], off
	global_store_dwordx4 v[24:25], v[102:105], off
	;; [unrolled: 1-line block ×3, first 2 shown]
	v_add_nc_u32_e32 v76, 0x330, v196
	v_fma_f64 v[96:97], v[148:149], s[0:1], v[146:147]
	v_fma_f64 v[94:95], v[154:155], s[4:5], v[150:151]
	v_mad_u64_u32 v[66:67], null, s2, v198, 0
	v_mov_b32_e32 v75, v82
	v_mad_u64_u32 v[68:69], null, s2, v76, 0
	v_lshlrev_b64 v[24:25], 4, v[72:73]
	v_add_nc_u32_e32 v77, 0x561, v196
	v_lshlrev_b64 v[70:71], 4, v[74:75]
	v_add_nc_u32_e32 v84, 0x594, v196
	v_mad_u64_u32 v[72:73], null, s3, v198, v[67:68]
	v_mad_u64_u32 v[73:74], null, s2, v77, 0
	v_add_co_u32 v24, vcc_lo, v112, v24
	v_mad_u64_u32 v[75:76], null, s3, v76, v[69:70]
	v_add_co_ci_u32_e32 v25, vcc_lo, v113, v25, vcc_lo
	v_add_co_u32 v70, vcc_lo, v112, v70
	v_mov_b32_e32 v67, v72
	v_add_co_ci_u32_e32 v71, vcc_lo, v113, v71, vcc_lo
	global_store_dwordx4 v[24:25], v[98:101], off
	v_mov_b32_e32 v24, v74
	v_mov_b32_e32 v69, v75
	v_lshlrev_b64 v[66:67], 4, v[66:67]
	global_store_dwordx4 v[70:71], v[94:97], off
	v_mad_u64_u32 v[70:71], null, s2, v197, 0
	v_mad_u64_u32 v[24:25], null, s3, v77, v[24:25]
	v_lshlrev_b64 v[68:69], 4, v[68:69]
	v_add_co_u32 v66, vcc_lo, v112, v66
	v_add_co_ci_u32_e32 v67, vcc_lo, v113, v67, vcc_lo
	v_add_nc_u32_e32 v77, 0x363, v196
	v_mov_b32_e32 v74, v24
	v_add_co_u32 v24, vcc_lo, v112, v68
	v_mov_b32_e32 v68, v71
	v_add_co_ci_u32_e32 v25, vcc_lo, v113, v69, vcc_lo
	v_lshlrev_b64 v[71:72], 4, v[73:74]
	v_mad_u64_u32 v[73:74], null, s2, v77, 0
	v_mad_u64_u32 v[68:69], null, s3, v197, v[68:69]
	;; [unrolled: 1-line block ×3, first 2 shown]
	v_add_co_u32 v75, vcc_lo, v112, v71
	v_add_co_ci_u32_e32 v76, vcc_lo, v113, v72, vcc_lo
	v_mov_b32_e32 v71, v68
	v_mov_b32_e32 v69, v74
	global_store_dwordx4 v[66:67], v[62:65], off
	global_store_dwordx4 v[24:25], v[0:3], off
	;; [unrolled: 1-line block ×3, first 2 shown]
	v_mov_b32_e32 v2, v83
	v_mad_u64_u32 v[24:25], null, s2, v194, 0
	v_lshlrev_b64 v[0:1], 4, v[70:71]
	v_mad_u64_u32 v[68:69], null, s3, v77, v[69:70]
	v_mad_u64_u32 v[2:3], null, s3, v84, v[2:3]
	v_add_nc_u32_e32 v66, 0x396, v196
	v_add_co_u32 v0, vcc_lo, v112, v0
	v_add_co_ci_u32_e32 v1, vcc_lo, v113, v1, vcc_lo
	v_mov_b32_e32 v3, v25
	v_add_nc_u32_e32 v67, 0x5c7, v196
	v_mov_b32_e32 v74, v68
	v_mov_b32_e32 v83, v2
	v_mad_u64_u32 v[64:65], null, s2, v66, 0
	v_mad_u64_u32 v[2:3], null, s3, v194, v[3:4]
	global_store_dwordx4 v[0:1], v[58:61], off
	v_mad_u64_u32 v[58:59], null, s2, v67, 0
	v_lshlrev_b64 v[62:63], 4, v[73:74]
	v_lshlrev_b64 v[0:1], 4, v[82:83]
	v_mov_b32_e32 v25, v2
	v_mov_b32_e32 v2, v65
	v_mov_b32_e32 v3, v59
	v_add_co_u32 v62, vcc_lo, v112, v62
	v_add_co_ci_u32_e32 v63, vcc_lo, v113, v63, vcc_lo
	v_mad_u64_u32 v[59:60], null, s3, v66, v[2:3]
	v_mad_u64_u32 v[60:61], null, s2, v193, 0
	v_add_co_u32 v0, vcc_lo, v112, v0
	global_store_dwordx4 v[62:63], v[78:81], off
	v_add_co_ci_u32_e32 v1, vcc_lo, v113, v1, vcc_lo
	v_lshlrev_b64 v[24:25], 4, v[24:25]
	v_mul_hi_u32 v62, 0xd347a4bd, v191
	v_mov_b32_e32 v65, v59
	global_store_dwordx4 v[0:1], v[4:7], off
	v_mov_b32_e32 v0, v61
	v_mad_u64_u32 v[2:3], null, s3, v67, v[3:4]
	v_add_co_u32 v24, vcc_lo, v112, v24
	v_add_co_ci_u32_e32 v25, vcc_lo, v113, v25, vcc_lo
	v_sub_nc_u32_e32 v5, v191, v62
	v_mad_u64_u32 v[0:1], null, s3, v193, v[0:1]
	global_store_dwordx4 v[24:25], v[54:57], off
	v_add_nc_u32_e32 v54, 0x3c9, v196
	v_lshrrev_b32_e32 v5, 1, v5
	v_lshlrev_b64 v[3:4], 4, v[64:65]
	v_add_nc_u32_e32 v56, 0x5fa, v196
	v_mov_b32_e32 v59, v2
	v_mov_b32_e32 v61, v0
	v_add_nc_u32_e32 v0, v5, v62
	v_mad_u64_u32 v[5:6], null, s2, v54, 0
	v_add_co_u32 v1, vcc_lo, v112, v3
	v_lshrrev_b32_e32 v55, 9, v0
	v_mad_u64_u32 v[24:25], null, s2, v56, 0
	v_add_co_ci_u32_e32 v2, vcc_lo, v113, v4, vcc_lo
	v_mov_b32_e32 v0, v6
	v_lshlrev_b64 v[3:4], 4, v[58:59]
	v_lshlrev_b64 v[6:7], 4, v[60:61]
	v_mad_u32_u24 v60, 0x462, v55, v191
	v_mul_hi_u32 v61, 0xd347a4bd, v188
	v_mad_u64_u32 v[54:55], null, s3, v54, v[0:1]
	v_add_co_u32 v3, vcc_lo, v112, v3
	v_mad_u64_u32 v[55:56], null, s3, v56, v[25:26]
	v_mad_u64_u32 v[56:57], null, s2, v60, 0
	v_add_co_ci_u32_e32 v4, vcc_lo, v113, v4, vcc_lo
	v_add_co_u32 v58, vcc_lo, v112, v6
	v_mov_b32_e32 v6, v54
	global_store_dwordx4 v[1:2], v[50:53], off
	global_store_dwordx4 v[3:4], v[46:49], off
	v_mov_b32_e32 v0, v57
	v_add_co_ci_u32_e32 v59, vcc_lo, v113, v7, vcc_lo
	v_lshlrev_b64 v[1:2], 4, v[5:6]
	v_sub_nc_u32_e32 v7, v188, v61
	v_mov_b32_e32 v25, v55
	global_store_dwordx4 v[58:59], v[38:41], off
	v_mad_u64_u32 v[5:6], null, s3, v60, v[0:1]
	v_lshrrev_b32_e32 v6, 1, v7
	v_lshlrev_b64 v[3:4], 4, v[24:25]
	v_add_co_u32 v0, vcc_lo, v112, v1
	v_add_co_ci_u32_e32 v1, vcc_lo, v113, v2, vcc_lo
	v_add_nc_u32_e32 v6, v6, v61
	v_add_co_u32 v2, vcc_lo, v112, v3
	v_add_nc_u32_e32 v24, 0x231, v60
	v_add_co_ci_u32_e32 v3, vcc_lo, v113, v4, vcc_lo
	v_lshrrev_b32_e32 v6, 9, v6
	v_add_nc_u32_e32 v25, 0x462, v60
	v_mov_b32_e32 v57, v5
	v_mad_u64_u32 v[4:5], null, s2, v24, 0
	v_mad_u32_u24 v38, 0x462, v6, v188
	global_store_dwordx4 v[0:1], v[42:45], off
	global_store_dwordx4 v[2:3], v[8:11], off
	v_mad_u64_u32 v[2:3], null, s2, v25, 0
	v_mad_u64_u32 v[6:7], null, s2, v38, 0
	v_lshlrev_b64 v[0:1], 4, v[56:57]
	v_add_nc_u32_e32 v40, 0x231, v38
	v_add_nc_u32_e32 v41, 0x462, v38
	v_mad_u64_u32 v[8:9], null, s3, v24, v[5:6]
	v_mad_u64_u32 v[9:10], null, s3, v25, v[3:4]
	;; [unrolled: 1-line block ×3, first 2 shown]
	v_add_co_u32 v0, vcc_lo, v112, v0
	v_mov_b32_e32 v3, v7
	v_add_co_ci_u32_e32 v1, vcc_lo, v113, v1, vcc_lo
	v_mov_b32_e32 v5, v8
	v_mad_u64_u32 v[24:25], null, s3, v38, v[3:4]
	v_mad_u64_u32 v[38:39], null, s2, v41, 0
	global_store_dwordx4 v[0:1], v[26:29], off
	v_mov_b32_e32 v0, v11
	v_mov_b32_e32 v3, v9
	v_lshlrev_b64 v[4:5], 4, v[4:5]
	v_mov_b32_e32 v7, v24
	v_mad_u64_u32 v[0:1], null, s3, v40, v[0:1]
	v_lshlrev_b64 v[2:3], 4, v[2:3]
	v_mov_b32_e32 v1, v39
	v_add_co_u32 v4, vcc_lo, v112, v4
	v_add_co_ci_u32_e32 v5, vcc_lo, v113, v5, vcc_lo
	v_mad_u64_u32 v[8:9], null, s3, v41, v[1:2]
	v_mov_b32_e32 v11, v0
	v_lshlrev_b64 v[6:7], 4, v[6:7]
	v_add_co_u32 v0, vcc_lo, v112, v2
	v_add_co_ci_u32_e32 v1, vcc_lo, v113, v3, vcc_lo
	v_mov_b32_e32 v39, v8
	v_lshlrev_b64 v[2:3], 4, v[10:11]
	v_add_co_u32 v6, vcc_lo, v112, v6
	v_add_co_ci_u32_e32 v7, vcc_lo, v113, v7, vcc_lo
	v_lshlrev_b64 v[8:9], 4, v[38:39]
	v_add_co_u32 v2, vcc_lo, v112, v2
	v_add_co_ci_u32_e32 v3, vcc_lo, v113, v3, vcc_lo
	v_add_co_u32 v8, vcc_lo, v112, v8
	v_add_co_ci_u32_e32 v9, vcc_lo, v113, v9, vcc_lo
	global_store_dwordx4 v[4:5], v[34:37], off
	global_store_dwordx4 v[0:1], v[20:23], off
	;; [unrolled: 1-line block ×5, first 2 shown]
.LBB0_19:
	s_endpgm
	.section	.rodata,"a",@progbits
	.p2align	6, 0x0
	.amdhsa_kernel fft_rtc_back_len1683_factors_17_3_11_3_wgs_51_tpt_51_halfLds_dp_ip_CI_sbrr_dirReg
		.amdhsa_group_segment_fixed_size 0
		.amdhsa_private_segment_fixed_size 0
		.amdhsa_kernarg_size 88
		.amdhsa_user_sgpr_count 6
		.amdhsa_user_sgpr_private_segment_buffer 1
		.amdhsa_user_sgpr_dispatch_ptr 0
		.amdhsa_user_sgpr_queue_ptr 0
		.amdhsa_user_sgpr_kernarg_segment_ptr 1
		.amdhsa_user_sgpr_dispatch_id 0
		.amdhsa_user_sgpr_flat_scratch_init 0
		.amdhsa_user_sgpr_private_segment_size 0
		.amdhsa_wavefront_size32 1
		.amdhsa_uses_dynamic_stack 0
		.amdhsa_system_sgpr_private_segment_wavefront_offset 0
		.amdhsa_system_sgpr_workgroup_id_x 1
		.amdhsa_system_sgpr_workgroup_id_y 0
		.amdhsa_system_sgpr_workgroup_id_z 0
		.amdhsa_system_sgpr_workgroup_info 0
		.amdhsa_system_vgpr_workitem_id 0
		.amdhsa_next_free_vgpr 255
		.amdhsa_next_free_sgpr 58
		.amdhsa_reserve_vcc 1
		.amdhsa_reserve_flat_scratch 0
		.amdhsa_float_round_mode_32 0
		.amdhsa_float_round_mode_16_64 0
		.amdhsa_float_denorm_mode_32 3
		.amdhsa_float_denorm_mode_16_64 3
		.amdhsa_dx10_clamp 1
		.amdhsa_ieee_mode 1
		.amdhsa_fp16_overflow 0
		.amdhsa_workgroup_processor_mode 1
		.amdhsa_memory_ordered 1
		.amdhsa_forward_progress 0
		.amdhsa_shared_vgpr_count 0
		.amdhsa_exception_fp_ieee_invalid_op 0
		.amdhsa_exception_fp_denorm_src 0
		.amdhsa_exception_fp_ieee_div_zero 0
		.amdhsa_exception_fp_ieee_overflow 0
		.amdhsa_exception_fp_ieee_underflow 0
		.amdhsa_exception_fp_ieee_inexact 0
		.amdhsa_exception_int_div_zero 0
	.end_amdhsa_kernel
	.text
.Lfunc_end0:
	.size	fft_rtc_back_len1683_factors_17_3_11_3_wgs_51_tpt_51_halfLds_dp_ip_CI_sbrr_dirReg, .Lfunc_end0-fft_rtc_back_len1683_factors_17_3_11_3_wgs_51_tpt_51_halfLds_dp_ip_CI_sbrr_dirReg
                                        ; -- End function
	.section	.AMDGPU.csdata,"",@progbits
; Kernel info:
; codeLenInByte = 33860
; NumSgprs: 60
; NumVgprs: 255
; ScratchSize: 0
; MemoryBound: 1
; FloatMode: 240
; IeeeMode: 1
; LDSByteSize: 0 bytes/workgroup (compile time only)
; SGPRBlocks: 7
; VGPRBlocks: 31
; NumSGPRsForWavesPerEU: 60
; NumVGPRsForWavesPerEU: 255
; Occupancy: 4
; WaveLimiterHint : 1
; COMPUTE_PGM_RSRC2:SCRATCH_EN: 0
; COMPUTE_PGM_RSRC2:USER_SGPR: 6
; COMPUTE_PGM_RSRC2:TRAP_HANDLER: 0
; COMPUTE_PGM_RSRC2:TGID_X_EN: 1
; COMPUTE_PGM_RSRC2:TGID_Y_EN: 0
; COMPUTE_PGM_RSRC2:TGID_Z_EN: 0
; COMPUTE_PGM_RSRC2:TIDIG_COMP_CNT: 0
	.text
	.p2alignl 6, 3214868480
	.fill 48, 4, 3214868480
	.type	__hip_cuid_6f836971fc530441,@object ; @__hip_cuid_6f836971fc530441
	.section	.bss,"aw",@nobits
	.globl	__hip_cuid_6f836971fc530441
__hip_cuid_6f836971fc530441:
	.byte	0                               ; 0x0
	.size	__hip_cuid_6f836971fc530441, 1

	.ident	"AMD clang version 19.0.0git (https://github.com/RadeonOpenCompute/llvm-project roc-6.4.0 25133 c7fe45cf4b819c5991fe208aaa96edf142730f1d)"
	.section	".note.GNU-stack","",@progbits
	.addrsig
	.addrsig_sym __hip_cuid_6f836971fc530441
	.amdgpu_metadata
---
amdhsa.kernels:
  - .args:
      - .actual_access:  read_only
        .address_space:  global
        .offset:         0
        .size:           8
        .value_kind:     global_buffer
      - .offset:         8
        .size:           8
        .value_kind:     by_value
      - .actual_access:  read_only
        .address_space:  global
        .offset:         16
        .size:           8
        .value_kind:     global_buffer
      - .actual_access:  read_only
        .address_space:  global
        .offset:         24
        .size:           8
        .value_kind:     global_buffer
      - .offset:         32
        .size:           8
        .value_kind:     by_value
      - .actual_access:  read_only
        .address_space:  global
        .offset:         40
        .size:           8
        .value_kind:     global_buffer
      - .actual_access:  read_only
        .address_space:  global
        .offset:         48
        .size:           8
        .value_kind:     global_buffer
      - .offset:         56
        .size:           4
        .value_kind:     by_value
      - .actual_access:  read_only
        .address_space:  global
        .offset:         64
        .size:           8
        .value_kind:     global_buffer
      - .actual_access:  read_only
        .address_space:  global
        .offset:         72
        .size:           8
        .value_kind:     global_buffer
      - .address_space:  global
        .offset:         80
        .size:           8
        .value_kind:     global_buffer
    .group_segment_fixed_size: 0
    .kernarg_segment_align: 8
    .kernarg_segment_size: 88
    .language:       OpenCL C
    .language_version:
      - 2
      - 0
    .max_flat_workgroup_size: 51
    .name:           fft_rtc_back_len1683_factors_17_3_11_3_wgs_51_tpt_51_halfLds_dp_ip_CI_sbrr_dirReg
    .private_segment_fixed_size: 0
    .sgpr_count:     60
    .sgpr_spill_count: 0
    .symbol:         fft_rtc_back_len1683_factors_17_3_11_3_wgs_51_tpt_51_halfLds_dp_ip_CI_sbrr_dirReg.kd
    .uniform_work_group_size: 1
    .uses_dynamic_stack: false
    .vgpr_count:     255
    .vgpr_spill_count: 0
    .wavefront_size: 32
    .workgroup_processor_mode: 1
amdhsa.target:   amdgcn-amd-amdhsa--gfx1030
amdhsa.version:
  - 1
  - 2
...

	.end_amdgpu_metadata
